;; amdgpu-corpus repo=ROCm/aiter kind=harvested arch=n/a opt=n/a

/root/src/amdgpu-assembly/repos/ROCm__aiter/hsa/gfx942/fmoe_2stages/fmoe_stage1_bf16_pertokenFp8_blockscale_g1u1_16x256_3tg_pf2.co:	file format elf64-amdgpu

Disassembly of section .text:

0000000000002a00 <_ZN5aiter59fmoe_stage1_bf16_pertokenFp8_blockscale_g1u1_16x256_3tg_pf2E>:
	s_and_b32 s1, s1, 0xffff                                   // 000000002A00: 8601FF01 0000FFFF
	s_load_dwordx2 s[8:9], s[0:1], 0x0                         // 000000002A08: C0060200 00000000
	s_load_dwordx2 s[20:21], s[0:1], 0x10                      // 000000002A10: C0060500 00000010
	s_load_dwordx2 s[24:25], s[0:1], 0x20                      // 000000002A18: C0060600 00000020
	s_load_dwordx2 s[48:49], s[0:1], 0x30                      // 000000002A20: C0060C00 00000030
	s_load_dwordx2 s[28:29], s[0:1], 0x40                      // 000000002A28: C0060700 00000040
	s_load_dwordx2 s[32:33], s[0:1], 0x50                      // 000000002A30: C0060800 00000050
	s_load_dwordx2 s[36:37], s[0:1], 0x60                      // 000000002A38: C0060900 00000060
	s_load_dwordx2 s[12:13], s[0:1], 0x70                      // 000000002A40: C0060300 00000070
	s_load_dwordx2 s[44:45], s[0:1], 0x80                      // 000000002A48: C0060B00 00000080
	s_mov_b32 s89, 0                                           // 000000002A50: BED90080
	s_load_dword s64, s[0:1], 0x90                             // 000000002A54: C0021000 00000090
	s_load_dword s65, s[0:1], 0xa0                             // 000000002A5C: C0021040 000000A0
	s_load_dword s66, s[0:1], 0xb0                             // 000000002A64: C0021080 000000B0
	s_load_dword s67, s[0:1], 0xc0                             // 000000002A6C: C00210C0 000000C0
	s_load_dword s68, s[0:1], 0xd0                             // 000000002A74: C0021100 000000D0
	s_load_dword s69, s[0:1], 0xe0                             // 000000002A7C: C0021140 000000E0
	s_load_dword s71, s[0:1], 0xf0                             // 000000002A84: C00211C0 000000F0
	s_load_dword s72, s[0:1], 0x100                            // 000000002A8C: C0021200 00000100
	s_load_dword s74, s[0:1], 0x110                            // 000000002A94: C0021280 00000110
	s_load_dword s76, s[0:1], 0x120                            // 000000002A9C: C0021300 00000120
	s_load_dword s56, s[0:1], 0x130                            // 000000002AA4: C0020E00 00000130
	s_load_dword s88, s[0:1], 0x140                            // 000000002AAC: C0021600 00000140
	s_load_dword s89, s[0:1], 0x150                            // 000000002AB4: C0021640 00000150
	v_lshrrev_b32_e32 v1, 10, v0                               // 000000002ABC: 2002008A
	v_lshrrev_b32_e32 v2, 10, v1                               // 000000002AC0: 2004028A
	v_and_b32_e32 v2, 0x3ff, v2                                // 000000002AC4: 260404FF 000003FF
	v_and_b32_e32 v1, 0x3ff, v1                                // 000000002ACC: 260202FF 000003FF
	v_and_b32_e32 v0, 0x3ff, v0                                // 000000002AD4: 260000FF 000003FF
	v_lshrrev_b32_e32 v3, 6, v0                                // 000000002ADC: 20060086
	v_and_b32_e32 v0, 63, v0                                   // 000000002AE0: 260000BF
	s_mov_b32 s2, s2                                           // 000000002AE4: BE820002
	s_mov_b32 s3, s3                                           // 000000002AE8: BE830003
	s_mov_b32 s4, s4                                           // 000000002AEC: BE840004
	v_readfirstlane_b32 s7, v3                                 // 000000002AF0: 7E0E0503
	s_waitcnt lgkmcnt(0)                                       // 000000002AF4: BF8CC07F
	s_and_b32 s49, s49, 0xffff                                 // 000000002AF8: 8631FF31 0000FFFF
	s_load_dword s48, s[48:49], 0x0                            // 000000002B00: C0020C18 00000000
	s_and_b32 s45, s45, 0xffff                                 // 000000002B08: 862DFF2D 0000FFFF
	s_and_b32 s9, s9, 0xffff                                   // 000000002B10: 8609FF09 0000FFFF
	s_mul_i32 s60, s66, s68                                    // 000000002B18: 923C4442
	s_mul_i32 s61, s66, 4                                      // 000000002B1C: 923D8442
	s_mov_b32 s22, s60                                         // 000000002B20: BE96003C
	s_mov_b32 s26, -16                                         // 000000002B24: BE9A00D0
	s_mov_b32 s30, s61                                         // 000000002B28: BE9E003D
	s_mov_b32 s14, 64                                          // 000000002B2C: BE8E00C0
	s_mov_b32 s38, -16                                         // 000000002B30: BEA600D0
	s_mov_b32 s10, -16                                         // 000000002B34: BE8A00D0
	s_lshr_b32 s60, s64, 7                                     // 000000002B38: 8F3C8740
	s_mul_i32 s61, s60, 4                                      // 000000002B3C: 923D843C
	s_lshr_b32 s60, s65, 7                                     // 000000002B40: 8F3C8741
	s_add_u32 s60, s60, 2                                      // 000000002B44: 803C823C
	s_mul_i32 s60, s60, s61                                    // 000000002B48: 923C3D3C
	s_mov_b32 s34, s60                                         // 000000002B4C: BEA2003C
	s_mov_b32 s23, 0x20000                                     // 000000002B50: BE9700FF 00020000
	s_mov_b32 s27, 0x20000                                     // 000000002B58: BE9B00FF 00020000
	s_mov_b32 s31, 0x20000                                     // 000000002B60: BE9F00FF 00020000
	s_mov_b32 s35, 0x20000                                     // 000000002B68: BEA300FF 00020000
	s_mov_b32 s15, 0x20000                                     // 000000002B70: BE8F00FF 00020000
	s_mov_b32 s39, 0x20000                                     // 000000002B78: BEA700FF 00020000
	s_mov_b32 s11, 0x20000                                     // 000000002B80: BE8B00FF 00020000
	s_and_b32 s21, s21, 0xffff                                 // 000000002B88: 8615FF15 0000FFFF
	s_and_b32 s25, s25, 0xffff                                 // 000000002B90: 8619FF19 0000FFFF
	s_and_b32 s29, s29, 0xffff                                 // 000000002B98: 861DFF1D 0000FFFF
	s_and_b32 s33, s33, 0xffff                                 // 000000002BA0: 8621FF21 0000FFFF
	s_and_b32 s13, s13, 0xffff                                 // 000000002BA8: 860DFF0D 0000FFFF
	s_and_b32 s37, s37, 0xffff                                 // 000000002BB0: 8625FF25 0000FFFF
	s_or_b32 s21, s21, 0x40000                                 // 000000002BB8: 8715FF15 00040000
	s_or_b32 s25, s25, 0x40000                                 // 000000002BC0: 8719FF19 00040000
	s_or_b32 s29, s29, 0x40000                                 // 000000002BC8: 871DFF1D 00040000
	s_or_b32 s33, s33, 0x40000                                 // 000000002BD0: 8721FF21 00040000
	s_or_b32 s13, s13, 0x40000                                 // 000000002BD8: 870DFF0D 00040000
	s_or_b32 s37, s37, 0x40000                                 // 000000002BE0: 8725FF25 00040000
	v_accvgpr_write_b32 a79, 0                                 // 000000002BE8: D3D9404F 18000080
	v_mov_b32_e32 v71, 0                                       // 000000002BF0: 7E8E0280
	s_waitcnt lgkmcnt(0)                                       // 000000002BF4: BF8CC07F
	s_mul_i32 s60, s3, 16                                      // 000000002BF8: 923C9003
	s_cmp_lt_i32 s60, s48                                      // 000000002BFC: BF04303C
	s_cbranch_scc0 label_0D29                                  // 000000002C00: BF840CA5
	s_mov_b32 s80, 0                                           // 000000002C04: BED00080
	s_lshr_b32 s81, s64, s88                                   // 000000002C08: 8F515840
	s_mul_i32 s60, s3, 4                                       // 000000002C0C: 923C8403
	s_add_u32 s44, s60, s44                                    // 000000002C10: 802C2C3C
	s_addc_u32 s45, 0, s45                                     // 000000002C14: 822D2D80
	s_load_dword s5, s[44:45], 0x0                             // 000000002C18: C0020156 00000000
	s_mul_i32 s60, s3, 16                                      // 000000002C20: 923C9003
	s_mul_i32 s60, 4, s60                                      // 000000002C24: 923C3C84
	s_add_u32 s12, s60, s12                                    // 000000002C28: 800C0C3C
	s_addc_u32 s13, 0, s13                                     // 000000002C2C: 820D0D80
	v_and_b32_e32 v4, 15, v0                                   // 000000002C30: 2608008F
	v_lshlrev_b32_e32 v4, 2, v4                                // 000000002C34: 24080882
	buffer_load_dword v28, v4, s[12:15], 0 offen               // 000000002C38: E0501000 80031C04
	v_add_u32_e32 v4, 64, v4                                   // 000000002C40: 680808C0
	s_mul_i32 s60, 4, s7                                       // 000000002C44: 923C0784
	v_lshlrev_b32_e32 v4, 4, v0                                // 000000002C48: 24080084
	v_add_u32_e32 v4, s60, v4                                  // 000000002C4C: 6808083C
	buffer_load_dword v3, v4, s[12:15], 0 offen                // 000000002C50: E0501000 80030304
	v_mov_b32_e32 v40, 0                                       // 000000002C58: 7E500280
	v_mov_b32_e32 v56, 0                                       // 000000002C5C: 7E700280
	v_mov_b32_e32 v41, 0                                       // 000000002C60: 7E520280
	v_mov_b32_e32 v57, 0                                       // 000000002C64: 7E720280
	v_mov_b32_e32 v42, 0                                       // 000000002C68: 7E540280
	v_mov_b32_e32 v58, 0                                       // 000000002C6C: 7E740280
	v_mov_b32_e32 v43, 0                                       // 000000002C70: 7E560280
	v_mov_b32_e32 v59, 0                                       // 000000002C74: 7E760280
	v_mov_b32_e32 v44, 0                                       // 000000002C78: 7E580280
	v_mov_b32_e32 v60, 0                                       // 000000002C7C: 7E780280
	v_mov_b32_e32 v45, 0                                       // 000000002C80: 7E5A0280
	v_mov_b32_e32 v61, 0                                       // 000000002C84: 7E7A0280
	v_mov_b32_e32 v46, 0                                       // 000000002C88: 7E5C0280
	v_mov_b32_e32 v62, 0                                       // 000000002C8C: 7E7C0280
	v_mov_b32_e32 v47, 0                                       // 000000002C90: 7E5E0280
	v_mov_b32_e32 v63, 0                                       // 000000002C94: 7E7E0280
	v_mov_b32_e32 v48, 0                                       // 000000002C98: 7E600280
	v_mov_b32_e32 v64, 0                                       // 000000002C9C: 7E800280
	v_mov_b32_e32 v49, 0                                       // 000000002CA0: 7E620280
	v_mov_b32_e32 v65, 0                                       // 000000002CA4: 7E820280
	v_mov_b32_e32 v50, 0                                       // 000000002CA8: 7E640280
	v_mov_b32_e32 v66, 0                                       // 000000002CAC: 7E840280
	v_mov_b32_e32 v51, 0                                       // 000000002CB0: 7E660280
	v_mov_b32_e32 v67, 0                                       // 000000002CB4: 7E860280
	v_mov_b32_e32 v52, 0                                       // 000000002CB8: 7E680280
	v_mov_b32_e32 v68, 0                                       // 000000002CBC: 7E880280
	v_mov_b32_e32 v53, 0                                       // 000000002CC0: 7E6A0280
	v_mov_b32_e32 v69, 0                                       // 000000002CC4: 7E8A0280
	v_mov_b32_e32 v54, 0                                       // 000000002CC8: 7E6C0280
	v_mov_b32_e32 v70, 0                                       // 000000002CCC: 7E8C0280
	v_mov_b32_e32 v55, 0                                       // 000000002CD0: 7E6E0280
	v_mov_b32_e32 v71, 0                                       // 000000002CD4: 7E8E0280
	s_mul_i32 s60, s2, 0x100                                   // 000000002CD8: 923CFF02 00000100
	s_cmp_eq_u32 s88, 0                                        // 000000002CE0: BF068058
	s_cselect_b32 s61, 1, 4                                    // 000000002CE4: 853D8481
	s_mul_i32 s60, s60, s61                                    // 000000002CE8: 923C3D3C
	s_mov_b32 s90, s8                                          // 000000002CEC: BEDA0008
	s_mov_b32 s91, s9                                          // 000000002CF0: BEDB0009
	s_add_u32 s8, s60, s8                                      // 000000002CF4: 8008083C
	s_addc_u32 s9, 0, s9                                       // 000000002CF8: 82090980
	v_lshrrev_b32_e32 v4, 4, v0                                // 000000002CFC: 20080084
	v_mul_lo_u32 v20, 34, v4                                   // 000000002D00: D2850014 000208A2
	v_and_b32_e32 v4, 15, v0                                   // 000000002D08: 2608008F
	v_mul_lo_u32 v5, 2, v4                                     // 000000002D0C: D2850005 00020882
	v_add_u32_e32 v20, v5, v20                                 // 000000002D14: 68282905
	s_mul_i32 s60, s7, 0x88                                    // 000000002D18: 923CFF07 00000088
	v_add_u32_e32 v20, s60, v20                                // 000000002D20: 6828283C
	v_lshlrev_b32_e32 v20, 2, v20                              // 000000002D24: 24282882
	v_and_b32_e32 v4, 31, v0                                   // 000000002D28: 2608009F
	v_lshrrev_b32_e32 v4, 1, v4                                // 000000002D2C: 20080881
	v_mul_lo_u32 v21, 34, v4                                   // 000000002D30: D2850015 000208A2
	v_lshrrev_b32_e32 v4, 5, v0                                // 000000002D38: 20080085
	v_mul_lo_u32 v4, 8, v4                                     // 000000002D3C: D2850004 00020888
	v_add_u32_e32 v21, v21, v4                                 // 000000002D44: 682A0915
	v_and_b32_e32 v5, 1, v0                                    // 000000002D48: 260A0081
	v_add_u32_e32 v21, v5, v21                                 // 000000002D4C: 682A2B05
	s_mul_i32 s60, s7, 2                                       // 000000002D50: 923C8207
	v_add_u32_e32 v21, s60, v21                                // 000000002D54: 682A2A3C
	v_lshlrev_b32_e32 v21, 2, v21                              // 000000002D58: 242A2A82
	s_mul_i32 s60, s7, 0x220                                   // 000000002D5C: 923CFF07 00000220
	s_add_u32 s48, 0, s60                                      // 000000002D64: 80303C80
	s_add_u32 s49, 0x880, s48                                  // 000000002D68: 803130FF 00000880
	v_lshrrev_b32_e32 v4, 4, v0                                // 000000002D70: 20080084
	v_lshlrev_b32_e32 v5, 2, v4                                // 000000002D74: 240A0882
	v_and_b32_e32 v4, 15, v0                                   // 000000002D78: 2608008F
	v_lshrrev_b32_e32 v6, 2, v4                                // 000000002D7C: 200C0882
	v_lshlrev_b32_e32 v6, 5, v6                                // 000000002D80: 240C0C85
	v_add_u32_e32 v5, v6, v5                                   // 000000002D84: 680A0B06
	v_and_b32_e32 v4, 3, v0                                    // 000000002D88: 26080083
	v_mul_u32_u24_e32 v6, 0x88, v4                             // 000000002D8C: 100C08FF 00000088
	v_add_u32_e32 v5, v6, v5                                   // 000000002D94: 680A0B06
	v_lshlrev_b32_e32 v2, 2, v5                                // 000000002D98: 24040A82
	s_waitcnt lgkmcnt(0)                                       // 000000002D9C: BF8CC07F
	s_mul_i32 s60, s2, 0x100                                   // 000000002DA0: 923CFF02 00000100
	s_mul_i32 s60, s60, s69                                    // 000000002DA8: 923C453C
	s_mul_i32 s61, s5, s72                                     // 000000002DAC: 923D4805
	s_add_u32 s60, s61, s60                                    // 000000002DB0: 803C3C3D
	s_add_u32 s24, s60, s24                                    // 000000002DB4: 8018183C
	s_addc_u32 s25, 0, s25                                     // 000000002DB8: 82191980
	s_lshr_b32 s60, s64, s88                                   // 000000002DBC: 8F3C5840
	s_mul_i32 s60, s4, s60                                     // 000000002DC0: 923C3C04
	s_lshr_b32 s60, s60, 7                                     // 000000002DC4: 8F3C873C
	s_mul_i32 s60, s60, 0x800                                  // 000000002DC8: 923CFF3C 00000800
	s_add_u32 s24, s60, s24                                    // 000000002DD0: 8018183C
	s_addc_u32 s25, 0, s25                                     // 000000002DD4: 82191980
	s_lshr_b32 s60, s69, s88                                   // 000000002DD8: 8F3C5845
	s_mul_i32 s60, s4, s60                                     // 000000002DDC: 923C3C04
	s_add_u32 s20, s60, s20                                    // 000000002DE0: 8014143C
	s_addc_u32 s21, 0, s21                                     // 000000002DE4: 82151580
	s_mul_i32 s60, s7, 16                                      // 000000002DE8: 923C9007
	s_mul_i32 s60, s60, s69                                    // 000000002DEC: 923C453C
	v_lshlrev_b32_e32 v34, 4, v0                               // 000000002DF0: 24440084
	v_add_u32_e32 v34, s60, v34                                // 000000002DF4: 6844443C
	s_mul_i32 s60, 64, s69                                     // 000000002DF8: 923C45C0
	v_add_u32_e32 v35, s60, v34                                // 000000002DFC: 6846443C
	v_add_u32_e32 v36, s60, v35                                // 000000002E00: 6848463C
	v_add_u32_e32 v37, s60, v36                                // 000000002E04: 684A483C
	s_mov_b32 s84, s24                                         // 000000002E08: BED40018
	s_mov_b32 s85, s25                                         // 000000002E0C: BED50019
	s_mov_b32 s86, s26                                         // 000000002E10: BED6001A
	s_mov_b32 s87, s27                                         // 000000002E14: BED7001B
	s_mul_i32 s60, s69, s65                                    // 000000002E18: 923C4145
	s_add_u32 s84, s60, s84                                    // 000000002E1C: 8054543C
	s_addc_u32 s85, 0, s85                                     // 000000002E20: 82555580
	s_lshr_b32 s60, s64, 7                                     // 000000002E24: 8F3C8740
	s_mul_i32 s61, s60, 4                                      // 000000002E28: 923D843C
	v_and_b32_e32 v22, 15, v0                                  // 000000002E2C: 262C008F
	v_mul_lo_u32 v22, v22, s61                                 // 000000002E30: D2850016 00007B16
	s_lshr_b32 s60, s65, 7                                     // 000000002E38: 8F3C8741
	s_mul_i32 s60, s60, s61                                    // 000000002E3C: 923C3D3C
	v_add_u32_e64 v23, v22, s60                                // 000000002E40: D1340017 00007916
	s_mul_i32 s60, s2, 2                                       // 000000002E48: 923C8202
	s_mul_i32 s60, s60, s61                                    // 000000002E4C: 923C3D3C
	s_mul_i32 s61, s5, s74                                     // 000000002E50: 923D4A05
	s_add_u32 s61, s61, s60                                    // 000000002E54: 803D3C3D
	s_add_u32 s32, s61, s32                                    // 000000002E58: 8020203D
	s_addc_u32 s33, 0, s33                                     // 000000002E5C: 82212180
	s_lshr_b32 s60, s64, 7                                     // 000000002E60: 8F3C8740
	s_lshr_b32 s60, s60, s88                                   // 000000002E64: 8F3C583C
	s_mul_i32 s60, s4, s60                                     // 000000002E68: 923C3C04
	s_mul_i32 s61, s60, 4                                      // 000000002E6C: 923D843C
	s_add_u32 s32, s61, s32                                    // 000000002E70: 8020203D
	s_addc_u32 s33, 0, s33                                     // 000000002E74: 82212180
	s_lshl_b32 s62, s66, 2                                     // 000000002E78: 8E3E8242
	s_mul_i32 s62, s60, s62                                    // 000000002E7C: 923E3E3C
	s_add_u32 s28, s62, s28                                    // 000000002E80: 801C1C3E
	s_addc_u32 s29, 0, s29                                     // 000000002E84: 821D1D80
	s_mov_b32 s4, 4                                            // 000000002E88: BE840084
	s_mov_b32 s57, 0x80                                        // 000000002E8C: BEB900FF 00000080
	s_mov_b32 s58, 0x800                                       // 000000002E94: BEBA00FF 00000800
	s_mov_b32 s83, s58                                         // 000000002E9C: BED3003A
	s_mov_b32 s52, 0x7060302                                   // 000000002EA0: BEB400FF 07060302
	s_mov_b32 s53, 0x400                                       // 000000002EA8: BEB500FF 00000400
	s_mov_b32 s54, 0x40100                                     // 000000002EB0: BEB600FF 00040100
	s_mov_b32 s55, 0x4020100                                   // 000000002EB8: BEB700FF 04020100
	s_mov_b32 s6, 0x3fb8aa3b                                   // 000000002EC0: BE8600FF 3FB8AA3B
	s_mov_b32 s78, 0xbd92220c                                  // 000000002EC8: BECE00FF BD92220C
	s_mov_b32 s79, 0xbd92220c                                  // 000000002ED0: BECF00FF BD92220C
	s_mov_b32 m0, s48                                          // 000000002ED8: BEFC0030
	v_mov_b32_e32 v1, 0xbfcc4231                               // 000000002EDC: 7E0202FF BFCC4231
	v_mov_b32_e32 v17, 0xffff0000                              // 000000002EE4: 7E2202FF FFFF0000
	v_mov_b32_e32 v18, 0x7fff0000                              // 000000002EEC: 7E2402FF 7FFF0000
	v_mov_b32_e32 v19, 0x7fff                                  // 000000002EF4: 7E2602FF 00007FFF
	s_waitcnt vmcnt(0) expcnt(0) lgkmcnt(0)                    // 000000002EFC: BF8C0000
	v_lshrrev_b32_e32 v4, 5, v0                                // 000000002F00: 20080085
	v_xor_b32_e32 v5, 1, v4                                    // 000000002F04: 2A0A0881
	v_readlane_b32 s82, v3, 0                                  // 000000002F08: D2890052 00010103
	s_and_b32 s82, s82, 0xffffff                               // 000000002F10: 8652FF52 00FFFFFF
	v_mul_lo_u32 v6, v5, s82                                   // 000000002F18: D2850006 0000A505
	v_readlane_b32 s82, v3, 1                                  // 000000002F20: D2890052 00010303
	s_and_b32 s82, s82, 0xffffff                               // 000000002F28: 8652FF52 00FFFFFF
	v_mul_lo_u32 v7, v4, s82                                   // 000000002F30: D2850007 0000A504
	v_add_u32_e32 v32, v6, v7                                  // 000000002F38: 68400F06
	v_mul_lo_u32 v32, v32, s68                                 // 000000002F3C: D2850020 00008920
	v_readlane_b32 s82, v3, 2                                  // 000000002F44: D2890052 00010503
	s_and_b32 s82, s82, 0xffffff                               // 000000002F4C: 8652FF52 00FFFFFF
	v_mul_lo_u32 v6, v5, s82                                   // 000000002F54: D2850006 0000A505
	v_readlane_b32 s82, v3, 3                                  // 000000002F5C: D2890052 00010703
	s_and_b32 s82, s82, 0xffffff                               // 000000002F64: 8652FF52 00FFFFFF
	v_mul_lo_u32 v7, v4, s82                                   // 000000002F6C: D2850007 0000A504
	v_add_u32_e32 v33, v6, v7                                  // 000000002F74: 68420F06
	v_mul_lo_u32 v33, v33, s68                                 // 000000002F78: D2850021 00008921
	v_and_b32_e32 v4, 31, v0                                   // 000000002F80: 2608009F
	v_lshlrev_b32_e32 v4, 2, v4                                // 000000002F84: 24080882
	v_add_u32_e32 v32, v32, v4                                 // 000000002F88: 68400920
	v_add_u32_e32 v33, v33, v4                                 // 000000002F8C: 68420921
	v_and_b32_e32 v28, 0xffffff, v28                           // 000000002F90: 263838FF 00FFFFFF
	v_lshlrev_b32_e32 v28, 2, v28                              // 000000002F98: 24383882
	s_lshl_b32 s3, s66, 2                                      // 000000002F9C: 8E038242
	buffer_load_dword v32, s[20:23], 0 offen lds               // 000000002FA0: E0511000 80050020
	s_add_u32 m0, 0x100, s48                                   // 000000002FA8: 807C30FF 00000100
	buffer_load_dword v33, s[20:23], 0 offen lds               // 000000002FB0: E0511000 80050021
	s_add_u32 m0, 0, s49                                       // 000000002FB8: 807C3180
	s_add_u32 s20, s57, s20                                    // 000000002FBC: 80141439
	s_addc_u32 s21, 0, s21                                     // 000000002FC0: 82151580
	buffer_load_dword v29, v28, s[28:31], 0 offen              // 000000002FC4: E0501000 80071D1C
	s_add_u32 s28, s3, s28                                     // 000000002FCC: 801C1C03
	s_addc_u32 s29, 0, s29                                     // 000000002FD0: 821D1D80
	buffer_load_dword v32, s[20:23], 0 offen lds               // 000000002FD4: E0511000 80050020
	s_add_u32 m0, 0x100, s49                                   // 000000002FDC: 807C31FF 00000100
	buffer_load_dword v33, s[20:23], 0 offen lds               // 000000002FE4: E0511000 80050021
	s_add_u32 m0, 0, s48                                       // 000000002FEC: 807C3080
	s_add_u32 s20, s57, s20                                    // 000000002FF0: 80141439
	s_addc_u32 s21, 0, s21                                     // 000000002FF4: 82151580
	buffer_load_dword v30, v28, s[28:31], 0 offen              // 000000002FF8: E0501000 80071E1C
	s_add_u32 s28, s3, s28                                     // 000000003000: 801C1C03
	s_addc_u32 s29, 0, s29                                     // 000000003004: 821D1D80
	buffer_load_dword v24, v22, s[32:35], 0 offen              // 000000003008: E0501000 80081816
	buffer_load_dwordx4 a[16:19], v34, s[24:27], 0 offen       // 000000003010: E05C1000 80861022
	buffer_load_dwordx4 a[20:23], v34, s[24:27], 0 offen offset:1024// 000000003018: E05C1400 80861422
	buffer_load_dwordx4 a[24:27], v35, s[24:27], 0 offen       // 000000003020: E05C1000 80861823
	buffer_load_dwordx4 a[28:31], v35, s[24:27], 0 offen offset:1024// 000000003028: E05C1400 80861C23
	buffer_load_dwordx4 a[32:35], v36, s[24:27], 0 offen       // 000000003030: E05C1000 80862024
	buffer_load_dwordx4 a[36:39], v36, s[24:27], 0 offen offset:1024// 000000003038: E05C1400 80862424
	buffer_load_dwordx4 a[40:43], v37, s[24:27], 0 offen       // 000000003040: E05C1000 80862825
	buffer_load_dwordx4 a[44:47], v37, s[24:27], 0 offen offset:1024// 000000003048: E05C1400 80862C25
	s_add_u32 s24, s58, s24                                    // 000000003050: 8018183A
	s_addc_u32 s25, 0, s25                                     // 000000003054: 82191980
	s_waitcnt vmcnt(13)                                        // 000000003058: BF8C0F7D
	s_barrier                                                  // 00000000305C: BF8A0000
	ds_read_b128 a[0:3], v2                                    // 000000003060: DBFE0000 00000002
	ds_read_b128 a[4:7], v2 offset:64                          // 000000003068: DBFE0040 04000002
	s_cmp_lt_i32 s7, 2                                         // 000000003070: BF048207
	s_cbranch_scc0 label_0765                                  // 000000003074: BF8405C4

0000000000003078 <label_019E>:
	s_waitcnt vmcnt(6) lgkmcnt(0)                              // 000000003078: BF8C0076
	s_barrier                                                  // 00000000307C: BF8A0000
	v_mov_b32_e32 v31, v29                                     // 000000003080: 7E3E031D
	v_mul_f32_dpp v4, v24, v31 row_newbcast:0 row_mask:0xf bank_mask:0xf// 000000003084: 0A083EFA FF015018
	v_mfma_f32_16x16x32_fp8_fp8 v[8:11], a[16:17], a[0:1], 0   // 00000000308C: D3F30008 1A020110
	buffer_load_dword v27, v23, s[32:35], 0 offen              // 000000003094: E0501000 80081B17
	v_mfma_f32_16x16x32_fp8_fp8 v[8:11], a[18:19], a[2:3], v[8:11]// 00000000309C: D3F30008 1C220512
	buffer_load_dwordx4 a[48:51], v34, s[84:87], 0 offen       // 0000000030A4: E05C1000 80953022
	v_mfma_f32_16x16x32_fp8_fp8 v[8:11], a[20:21], a[4:5], v[8:11]// 0000000030AC: D3F30008 1C220914
	v_mfma_f32_16x16x32_fp8_fp8 v[8:11], a[22:23], a[6:7], v[8:11]// 0000000030B4: D3F30008 1C220D16
	s_waitcnt vmcnt(6)                                         // 0000000030BC: BF8C0F76
	v_mul_f32_dpp v6, v24, v31 row_newbcast:0 row_mask:0xf bank_mask:0xf// 0000000030C0: 0A0C3EFA FF015018
	v_mfma_f32_16x16x32_fp8_fp8 v[12:15], a[24:25], a[0:1], 0  // 0000000030C8: D3F3000C 1A020118
	v_mfma_f32_16x16x32_fp8_fp8 v[12:15], a[26:27], a[2:3], v[12:15]// 0000000030D0: D3F3000C 1C32051A
	buffer_load_dwordx4 a[52:55], v34, s[84:87], 0 offen offset:1024// 0000000030D8: E05C1400 80953422
	v_mfma_f32_16x16x32_fp8_fp8 v[12:15], a[28:29], a[4:5], v[12:15]// 0000000030E0: D3F3000C 1C32091C
	v_mfma_f32_16x16x32_fp8_fp8 v[12:15], a[30:31], a[6:7], v[12:15]// 0000000030E8: D3F3000C 1C320D1E
	v_fma_f32 v40, v8, v4, v40                                 // 0000000030F0: D1CB0028 04A20908
	v_fma_f32 v41, v9, v4, v41                                 // 0000000030F8: D1CB0029 04A60909
	v_fma_f32 v42, v10, v4, v42                                // 000000003100: D1CB002A 04AA090A
	v_fma_f32 v43, v11, v4, v43                                // 000000003108: D1CB002B 04AE090B
	s_waitcnt vmcnt(5)                                         // 000000003110: BF8C0F75
	v_mul_f32_dpp v4, v24, v31 row_newbcast:1 row_mask:0xf bank_mask:0xf// 000000003114: 0A083EFA FF015118
	v_mfma_f32_16x16x32_fp8_fp8 v[8:11], a[32:33], a[0:1], 0   // 00000000311C: D3F30008 1A020120
	v_mfma_f32_16x16x32_fp8_fp8 v[8:11], a[34:35], a[2:3], v[8:11]// 000000003124: D3F30008 1C220522
	buffer_load_dwordx4 a[56:59], v35, s[84:87], 0 offen       // 00000000312C: E05C1000 80953823
	v_mfma_f32_16x16x32_fp8_fp8 v[8:11], a[36:37], a[4:5], v[8:11]// 000000003134: D3F30008 1C220924
	v_mfma_f32_16x16x32_fp8_fp8 v[8:11], a[38:39], a[6:7], v[8:11]// 00000000313C: D3F30008 1C220D26
	v_fma_f32 v44, v12, v6, v44                                // 000000003144: D1CB002C 04B20D0C
	v_fma_f32 v45, v13, v6, v45                                // 00000000314C: D1CB002D 04B60D0D
	v_fma_f32 v46, v14, v6, v46                                // 000000003154: D1CB002E 04BA0D0E
	v_fma_f32 v47, v15, v6, v47                                // 00000000315C: D1CB002F 04BE0D0F
	s_waitcnt vmcnt(4)                                         // 000000003164: BF8C0F74
	v_mul_f32_dpp v6, v24, v31 row_newbcast:1 row_mask:0xf bank_mask:0xf// 000000003168: 0A0C3EFA FF015118
	v_mfma_f32_16x16x32_fp8_fp8 v[12:15], a[40:41], a[0:1], 0  // 000000003170: D3F3000C 1A020128
	v_mfma_f32_16x16x32_fp8_fp8 v[12:15], a[42:43], a[2:3], v[12:15]// 000000003178: D3F3000C 1C32052A
	buffer_load_dwordx4 a[60:63], v35, s[84:87], 0 offen offset:1024// 000000003180: E05C1400 80953C23
	s_add_u32 s60, 0x80, s80                                   // 000000003188: 803C50FF 00000080
	s_cmp_lt_u32 s60, s81                                      // 000000003190: BF0A513C
	s_cselect_b32 s83, s83, 0                                  // 000000003194: 85538053
	s_cselect_b32 s4, s4, 0                                    // 000000003198: 85048004
	v_mfma_f32_16x16x32_fp8_fp8 v[12:15], a[44:45], a[4:5], v[12:15]// 00000000319C: D3F3000C 1C32092C
	s_add_u32 s32, s4, s32                                     // 0000000031A4: 80202004
	s_addc_u32 s33, 0, s33                                     // 0000000031A8: 82212180
	v_mfma_f32_16x16x32_fp8_fp8 v[12:15], a[46:47], a[6:7], v[12:15]// 0000000031AC: D3F3000C 1C320D2E
	v_fma_f32 v48, v8, v4, v48                                 // 0000000031B4: D1CB0030 04C20908
	v_fma_f32 v49, v9, v4, v49                                 // 0000000031BC: D1CB0031 04C60909
	v_fma_f32 v50, v10, v4, v50                                // 0000000031C4: D1CB0032 04CA090A
	v_fma_f32 v51, v11, v4, v51                                // 0000000031CC: D1CB0033 04CE090B
	v_fma_f32 v52, v12, v6, v52                                // 0000000031D4: D1CB0034 04D20D0C
	v_fma_f32 v53, v13, v6, v53                                // 0000000031DC: D1CB0035 04D60D0D
	v_fma_f32 v54, v14, v6, v54                                // 0000000031E4: D1CB0036 04DA0D0E
	v_fma_f32 v55, v15, v6, v55                                // 0000000031EC: D1CB0037 04DE0D0F
	buffer_load_dwordx4 a[64:67], v36, s[84:87], 0 offen       // 0000000031F4: E05C1000 80954024
	buffer_load_dwordx4 a[68:71], v36, s[84:87], 0 offen offset:1024// 0000000031FC: E05C1400 80954424
	buffer_load_dwordx4 a[72:75], v37, s[84:87], 0 offen       // 000000003204: E05C1000 80954825
	buffer_load_dwordx4 a[76:79], v37, s[84:87], 0 offen offset:1024// 00000000320C: E05C1400 80954C25
	buffer_load_dword v32, s[20:23], 0 offen lds               // 000000003214: E0511000 80050020
	s_add_u32 m0, 0x100, s48                                   // 00000000321C: 807C30FF 00000100
	buffer_load_dword v33, s[20:23], 0 offen lds               // 000000003224: E0511000 80050021
	s_add_u32 m0, 0, s49                                       // 00000000322C: 807C3180
	buffer_load_dword v29, v28, s[28:31], 0 offen              // 000000003230: E0501000 80071D1C
	s_waitcnt vmcnt(3)                                         // 000000003238: BF8C0F73
	v_mul_f32_dpp v4, v27, v31 row_newbcast:0 row_mask:0xf bank_mask:0xf// 00000000323C: 0A083EFA FF01501B
	v_mfma_f32_16x16x32_fp8_fp8 v[8:11], a[48:49], a[0:1], 0   // 000000003244: D3F30008 1A020130
	buffer_load_dword v24, v22, s[32:35], 0 offen              // 00000000324C: E0501000 80081816
	v_mfma_f32_16x16x32_fp8_fp8 v[8:11], a[50:51], a[2:3], v[8:11]// 000000003254: D3F30008 1C220532
	buffer_load_dwordx4 a[16:19], v34, s[24:27], 0 offen       // 00000000325C: E05C1000 80861022
	v_mfma_f32_16x16x32_fp8_fp8 v[8:11], a[52:53], a[4:5], v[8:11]// 000000003264: D3F30008 1C220934
	v_mfma_f32_16x16x32_fp8_fp8 v[8:11], a[54:55], a[6:7], v[8:11]// 00000000326C: D3F30008 1C220D36
	ds_read_b128 a[8:11], v2 offset:2176                       // 000000003274: DBFE0880 08000002
	ds_read_b128 a[12:15], v2 offset:2240                      // 00000000327C: DBFE08C0 0C000002
	v_mfma_f32_16x16x32_fp8_fp8 v[12:15], a[56:57], a[0:1], 0  // 000000003284: D3F3000C 1A020138
	v_mfma_f32_16x16x32_fp8_fp8 v[12:15], a[58:59], a[2:3], v[12:15]// 00000000328C: D3F3000C 1C32053A
	buffer_load_dwordx4 a[20:23], v34, s[24:27], 0 offen offset:1024// 000000003294: E05C1400 80861422
	v_mfma_f32_16x16x32_fp8_fp8 v[12:15], a[60:61], a[4:5], v[12:15]// 00000000329C: D3F3000C 1C32093C
	v_mfma_f32_16x16x32_fp8_fp8 v[12:15], a[62:63], a[6:7], v[12:15]// 0000000032A4: D3F3000C 1C320D3E
	v_fma_f32 v56, v8, v4, v56                                 // 0000000032AC: D1CB0038 04E20908
	v_fma_f32 v57, v9, v4, v57                                 // 0000000032B4: D1CB0039 04E60909
	v_fma_f32 v58, v10, v4, v58                                // 0000000032BC: D1CB003A 04EA090A
	v_fma_f32 v59, v11, v4, v59                                // 0000000032C4: D1CB003B 04EE090B
	v_mul_f32_dpp v6, v27, v31 row_newbcast:1 row_mask:0xf bank_mask:0xf// 0000000032CC: 0A0C3EFA FF01511B
	v_mfma_f32_16x16x32_fp8_fp8 v[8:11], a[64:65], a[0:1], 0   // 0000000032D4: D3F30008 1A020140
	v_mfma_f32_16x16x32_fp8_fp8 v[8:11], a[66:67], a[2:3], v[8:11]// 0000000032DC: D3F30008 1C220542
	buffer_load_dwordx4 a[24:27], v35, s[24:27], 0 offen       // 0000000032E4: E05C1000 80861823
	v_mfma_f32_16x16x32_fp8_fp8 v[8:11], a[68:69], a[4:5], v[8:11]// 0000000032EC: D3F30008 1C220944
	s_add_u32 s60, 0x180, s80                                  // 0000000032F4: 803C50FF 00000180
	s_cmp_lt_u32 s60, s81                                      // 0000000032FC: BF0A513C
	s_cselect_b32 s57, s57, 0                                  // 000000003300: 85398039
	s_cselect_b32 s3, s3, 0                                    // 000000003304: 85038003
	v_mfma_f32_16x16x32_fp8_fp8 v[8:11], a[70:71], a[6:7], v[8:11]// 000000003308: D3F30008 1C220D46
	s_add_u32 s60, 0x100, s80                                  // 000000003310: 803C50FF 00000100
	s_cmp_lt_u32 s60, s81                                      // 000000003318: BF0A513C
	s_cselect_b32 s58, s58, 0                                  // 00000000331C: 853A803A
	v_fma_f32 v60, v12, v4, v60                                // 000000003320: D1CB003C 04F2090C
	v_fma_f32 v61, v13, v4, v61                                // 000000003328: D1CB003D 04F6090D
	v_fma_f32 v62, v14, v4, v62                                // 000000003330: D1CB003E 04FA090E
	v_fma_f32 v63, v15, v4, v63                                // 000000003338: D1CB003F 04FE090F
	v_mfma_f32_16x16x32_fp8_fp8 v[12:15], a[72:73], a[0:1], 0  // 000000003340: D3F3000C 1A020148
	v_mfma_f32_16x16x32_fp8_fp8 v[12:15], a[74:75], a[2:3], v[12:15]// 000000003348: D3F3000C 1C32054A
	buffer_load_dwordx4 a[28:31], v35, s[24:27], 0 offen offset:1024// 000000003350: E05C1400 80861C23
	s_add_u32 s20, s57, s20                                    // 000000003358: 80141439
	s_addc_u32 s21, 0, s21                                     // 00000000335C: 82151580
	s_add_u32 s28, s3, s28                                     // 000000003360: 801C1C03
	s_addc_u32 s29, 0, s29                                     // 000000003364: 821D1D80
	v_mfma_f32_16x16x32_fp8_fp8 v[12:15], a[76:77], a[4:5], v[12:15]// 000000003368: D3F3000C 1C32094C
	s_add_u32 s84, s83, s84                                    // 000000003370: 80545453
	s_addc_u32 s85, 0, s85                                     // 000000003374: 82555580
	v_mfma_f32_16x16x32_fp8_fp8 v[12:15], a[78:79], a[6:7], v[12:15]// 000000003378: D3F3000C 1C320D4E
	v_fma_f32 v64, v8, v6, v64                                 // 000000003380: D1CB0040 05020D08
	v_fma_f32 v65, v9, v6, v65                                 // 000000003388: D1CB0041 05060D09
	v_fma_f32 v66, v10, v6, v66                                // 000000003390: D1CB0042 050A0D0A
	v_fma_f32 v67, v11, v6, v67                                // 000000003398: D1CB0043 050E0D0B
	v_fma_f32 v68, v12, v6, v68                                // 0000000033A0: D1CB0044 05120D0C
	v_fma_f32 v69, v13, v6, v69                                // 0000000033A8: D1CB0045 05160D0D
	v_fma_f32 v70, v14, v6, v70                                // 0000000033B0: D1CB0046 051A0D0E
	v_fma_f32 v71, v15, v6, v71                                // 0000000033B8: D1CB0047 051E0D0F
	buffer_load_dwordx4 a[32:35], v36, s[24:27], 0 offen       // 0000000033C0: E05C1000 80862024
	buffer_load_dwordx4 a[36:39], v36, s[24:27], 0 offen offset:1024// 0000000033C8: E05C1400 80862424
	buffer_load_dwordx4 a[40:43], v37, s[24:27], 0 offen       // 0000000033D0: E05C1000 80862825
	buffer_load_dwordx4 a[44:47], v37, s[24:27], 0 offen offset:1024// 0000000033D8: E05C1400 80862C25
	s_add_u32 s24, s58, s24                                    // 0000000033E0: 8018183A
	s_addc_u32 s25, 0, s25                                     // 0000000033E4: 82191980
	s_addk_i32 s80, 0x80                                       // 0000000033E8: B7500080
	s_cmp_lt_i32 s80, s81                                      // 0000000033EC: BF045150
	s_cbranch_scc0 label_035D                                  // 0000000033F0: BF8400E0
	s_waitcnt vmcnt(6) lgkmcnt(0)                              // 0000000033F4: BF8C0076
	s_barrier                                                  // 0000000033F8: BF8A0000
	v_mov_b32_e32 v31, v30                                     // 0000000033FC: 7E3E031E
	v_mul_f32_dpp v4, v24, v31 row_newbcast:0 row_mask:0xf bank_mask:0xf// 000000003400: 0A083EFA FF015018
	v_mfma_f32_16x16x32_fp8_fp8 v[8:11], a[16:17], a[8:9], 0   // 000000003408: D3F30008 1A021110
	buffer_load_dword v27, v23, s[32:35], 0 offen              // 000000003410: E0501000 80081B17
	v_mfma_f32_16x16x32_fp8_fp8 v[8:11], a[18:19], a[10:11], v[8:11]// 000000003418: D3F30008 1C221512
	buffer_load_dwordx4 a[48:51], v34, s[84:87], 0 offen       // 000000003420: E05C1000 80953022
	v_mfma_f32_16x16x32_fp8_fp8 v[8:11], a[20:21], a[12:13], v[8:11]// 000000003428: D3F30008 1C221914
	v_mfma_f32_16x16x32_fp8_fp8 v[8:11], a[22:23], a[14:15], v[8:11]// 000000003430: D3F30008 1C221D16
	s_waitcnt vmcnt(6)                                         // 000000003438: BF8C0F76
	v_mul_f32_dpp v6, v24, v31 row_newbcast:0 row_mask:0xf bank_mask:0xf// 00000000343C: 0A0C3EFA FF015018
	v_mfma_f32_16x16x32_fp8_fp8 v[12:15], a[24:25], a[8:9], 0  // 000000003444: D3F3000C 1A021118
	v_mfma_f32_16x16x32_fp8_fp8 v[12:15], a[26:27], a[10:11], v[12:15]// 00000000344C: D3F3000C 1C32151A
	buffer_load_dwordx4 a[52:55], v34, s[84:87], 0 offen offset:1024// 000000003454: E05C1400 80953422
	v_mfma_f32_16x16x32_fp8_fp8 v[12:15], a[28:29], a[12:13], v[12:15]// 00000000345C: D3F3000C 1C32191C
	v_mfma_f32_16x16x32_fp8_fp8 v[12:15], a[30:31], a[14:15], v[12:15]// 000000003464: D3F3000C 1C321D1E
	v_fma_f32 v40, v8, v4, v40                                 // 00000000346C: D1CB0028 04A20908
	v_fma_f32 v41, v9, v4, v41                                 // 000000003474: D1CB0029 04A60909
	v_fma_f32 v42, v10, v4, v42                                // 00000000347C: D1CB002A 04AA090A
	v_fma_f32 v43, v11, v4, v43                                // 000000003484: D1CB002B 04AE090B
	s_waitcnt vmcnt(5)                                         // 00000000348C: BF8C0F75
	v_mul_f32_dpp v4, v24, v31 row_newbcast:1 row_mask:0xf bank_mask:0xf// 000000003490: 0A083EFA FF015118
	v_mfma_f32_16x16x32_fp8_fp8 v[8:11], a[32:33], a[8:9], 0   // 000000003498: D3F30008 1A021120
	v_mfma_f32_16x16x32_fp8_fp8 v[8:11], a[34:35], a[10:11], v[8:11]// 0000000034A0: D3F30008 1C221522
	buffer_load_dwordx4 a[56:59], v35, s[84:87], 0 offen       // 0000000034A8: E05C1000 80953823
	v_mfma_f32_16x16x32_fp8_fp8 v[8:11], a[36:37], a[12:13], v[8:11]// 0000000034B0: D3F30008 1C221924
	v_mfma_f32_16x16x32_fp8_fp8 v[8:11], a[38:39], a[14:15], v[8:11]// 0000000034B8: D3F30008 1C221D26
	v_fma_f32 v44, v12, v6, v44                                // 0000000034C0: D1CB002C 04B20D0C
	v_fma_f32 v45, v13, v6, v45                                // 0000000034C8: D1CB002D 04B60D0D
	v_fma_f32 v46, v14, v6, v46                                // 0000000034D0: D1CB002E 04BA0D0E
	v_fma_f32 v47, v15, v6, v47                                // 0000000034D8: D1CB002F 04BE0D0F
	s_waitcnt vmcnt(4)                                         // 0000000034E0: BF8C0F74
	v_mul_f32_dpp v6, v24, v31 row_newbcast:1 row_mask:0xf bank_mask:0xf// 0000000034E4: 0A0C3EFA FF015118
	v_mfma_f32_16x16x32_fp8_fp8 v[12:15], a[40:41], a[8:9], 0  // 0000000034EC: D3F3000C 1A021128
	v_mfma_f32_16x16x32_fp8_fp8 v[12:15], a[42:43], a[10:11], v[12:15]// 0000000034F4: D3F3000C 1C32152A
	buffer_load_dwordx4 a[60:63], v35, s[84:87], 0 offen offset:1024// 0000000034FC: E05C1400 80953C23
	s_add_u32 s60, 0x80, s80                                   // 000000003504: 803C50FF 00000080
	s_cmp_lt_u32 s60, s81                                      // 00000000350C: BF0A513C
	s_cselect_b32 s83, s83, 0                                  // 000000003510: 85538053
	s_cselect_b32 s4, s4, 0                                    // 000000003514: 85048004
	v_mfma_f32_16x16x32_fp8_fp8 v[12:15], a[44:45], a[12:13], v[12:15]// 000000003518: D3F3000C 1C32192C
	s_add_u32 s32, s4, s32                                     // 000000003520: 80202004
	s_addc_u32 s33, 0, s33                                     // 000000003524: 82212180
	v_mfma_f32_16x16x32_fp8_fp8 v[12:15], a[46:47], a[14:15], v[12:15]// 000000003528: D3F3000C 1C321D2E
	v_fma_f32 v48, v8, v4, v48                                 // 000000003530: D1CB0030 04C20908
	v_fma_f32 v49, v9, v4, v49                                 // 000000003538: D1CB0031 04C60909
	v_fma_f32 v50, v10, v4, v50                                // 000000003540: D1CB0032 04CA090A
	v_fma_f32 v51, v11, v4, v51                                // 000000003548: D1CB0033 04CE090B
	v_fma_f32 v52, v12, v6, v52                                // 000000003550: D1CB0034 04D20D0C
	v_fma_f32 v53, v13, v6, v53                                // 000000003558: D1CB0035 04D60D0D
	v_fma_f32 v54, v14, v6, v54                                // 000000003560: D1CB0036 04DA0D0E
	v_fma_f32 v55, v15, v6, v55                                // 000000003568: D1CB0037 04DE0D0F
	buffer_load_dwordx4 a[64:67], v36, s[84:87], 0 offen       // 000000003570: E05C1000 80954024
	buffer_load_dwordx4 a[68:71], v36, s[84:87], 0 offen offset:1024// 000000003578: E05C1400 80954424
	buffer_load_dwordx4 a[72:75], v37, s[84:87], 0 offen       // 000000003580: E05C1000 80954825
	buffer_load_dwordx4 a[76:79], v37, s[84:87], 0 offen offset:1024// 000000003588: E05C1400 80954C25
	buffer_load_dword v32, s[20:23], 0 offen lds               // 000000003590: E0511000 80050020
	s_add_u32 m0, 0x100, s49                                   // 000000003598: 807C31FF 00000100
	buffer_load_dword v33, s[20:23], 0 offen lds               // 0000000035A0: E0511000 80050021
	s_add_u32 m0, 0, s48                                       // 0000000035A8: 807C3080
	buffer_load_dword v30, v28, s[28:31], 0 offen              // 0000000035AC: E0501000 80071E1C
	s_waitcnt vmcnt(3)                                         // 0000000035B4: BF8C0F73
	v_mul_f32_dpp v4, v27, v31 row_newbcast:0 row_mask:0xf bank_mask:0xf// 0000000035B8: 0A083EFA FF01501B
	v_mfma_f32_16x16x32_fp8_fp8 v[8:11], a[48:49], a[8:9], 0   // 0000000035C0: D3F30008 1A021130
	buffer_load_dword v24, v22, s[32:35], 0 offen              // 0000000035C8: E0501000 80081816
	v_mfma_f32_16x16x32_fp8_fp8 v[8:11], a[50:51], a[10:11], v[8:11]// 0000000035D0: D3F30008 1C221532
	buffer_load_dwordx4 a[16:19], v34, s[24:27], 0 offen       // 0000000035D8: E05C1000 80861022
	v_mfma_f32_16x16x32_fp8_fp8 v[8:11], a[52:53], a[12:13], v[8:11]// 0000000035E0: D3F30008 1C221934
	v_mfma_f32_16x16x32_fp8_fp8 v[8:11], a[54:55], a[14:15], v[8:11]// 0000000035E8: D3F30008 1C221D36
	ds_read_b128 a[0:3], v2                                    // 0000000035F0: DBFE0000 00000002
	ds_read_b128 a[4:7], v2 offset:64                          // 0000000035F8: DBFE0040 04000002
	v_mfma_f32_16x16x32_fp8_fp8 v[12:15], a[56:57], a[8:9], 0  // 000000003600: D3F3000C 1A021138
	v_mfma_f32_16x16x32_fp8_fp8 v[12:15], a[58:59], a[10:11], v[12:15]// 000000003608: D3F3000C 1C32153A
	buffer_load_dwordx4 a[20:23], v34, s[24:27], 0 offen offset:1024// 000000003610: E05C1400 80861422
	v_mfma_f32_16x16x32_fp8_fp8 v[12:15], a[60:61], a[12:13], v[12:15]// 000000003618: D3F3000C 1C32193C
	v_mfma_f32_16x16x32_fp8_fp8 v[12:15], a[62:63], a[14:15], v[12:15]// 000000003620: D3F3000C 1C321D3E
	v_fma_f32 v56, v8, v4, v56                                 // 000000003628: D1CB0038 04E20908
	v_fma_f32 v57, v9, v4, v57                                 // 000000003630: D1CB0039 04E60909
	v_fma_f32 v58, v10, v4, v58                                // 000000003638: D1CB003A 04EA090A
	v_fma_f32 v59, v11, v4, v59                                // 000000003640: D1CB003B 04EE090B
	v_mul_f32_dpp v6, v27, v31 row_newbcast:1 row_mask:0xf bank_mask:0xf// 000000003648: 0A0C3EFA FF01511B
	v_mfma_f32_16x16x32_fp8_fp8 v[8:11], a[64:65], a[8:9], 0   // 000000003650: D3F30008 1A021140
	v_mfma_f32_16x16x32_fp8_fp8 v[8:11], a[66:67], a[10:11], v[8:11]// 000000003658: D3F30008 1C221542
	buffer_load_dwordx4 a[24:27], v35, s[24:27], 0 offen       // 000000003660: E05C1000 80861823
	v_mfma_f32_16x16x32_fp8_fp8 v[8:11], a[68:69], a[12:13], v[8:11]// 000000003668: D3F30008 1C221944
	s_add_u32 s60, 0x180, s80                                  // 000000003670: 803C50FF 00000180
	s_cmp_lt_u32 s60, s81                                      // 000000003678: BF0A513C
	s_cselect_b32 s57, s57, 0                                  // 00000000367C: 85398039
	s_cselect_b32 s3, s3, 0                                    // 000000003680: 85038003
	v_mfma_f32_16x16x32_fp8_fp8 v[8:11], a[70:71], a[14:15], v[8:11]// 000000003684: D3F30008 1C221D46
	s_add_u32 s60, 0x100, s80                                  // 00000000368C: 803C50FF 00000100
	s_cmp_lt_u32 s60, s81                                      // 000000003694: BF0A513C
	s_cselect_b32 s58, s58, 0                                  // 000000003698: 853A803A
	v_fma_f32 v60, v12, v4, v60                                // 00000000369C: D1CB003C 04F2090C
	v_fma_f32 v61, v13, v4, v61                                // 0000000036A4: D1CB003D 04F6090D
	v_fma_f32 v62, v14, v4, v62                                // 0000000036AC: D1CB003E 04FA090E
	v_fma_f32 v63, v15, v4, v63                                // 0000000036B4: D1CB003F 04FE090F
	v_mfma_f32_16x16x32_fp8_fp8 v[12:15], a[72:73], a[8:9], 0  // 0000000036BC: D3F3000C 1A021148
	v_mfma_f32_16x16x32_fp8_fp8 v[12:15], a[74:75], a[10:11], v[12:15]// 0000000036C4: D3F3000C 1C32154A
	buffer_load_dwordx4 a[28:31], v35, s[24:27], 0 offen offset:1024// 0000000036CC: E05C1400 80861C23
	s_add_u32 s20, s57, s20                                    // 0000000036D4: 80141439
	s_addc_u32 s21, 0, s21                                     // 0000000036D8: 82151580
	s_add_u32 s28, s3, s28                                     // 0000000036DC: 801C1C03
	s_addc_u32 s29, 0, s29                                     // 0000000036E0: 821D1D80
	v_mfma_f32_16x16x32_fp8_fp8 v[12:15], a[76:77], a[12:13], v[12:15]// 0000000036E4: D3F3000C 1C32194C
	s_add_u32 s84, s83, s84                                    // 0000000036EC: 80545453
	s_addc_u32 s85, 0, s85                                     // 0000000036F0: 82555580
	v_mfma_f32_16x16x32_fp8_fp8 v[12:15], a[78:79], a[14:15], v[12:15]// 0000000036F4: D3F3000C 1C321D4E
	v_fma_f32 v64, v8, v6, v64                                 // 0000000036FC: D1CB0040 05020D08
	v_fma_f32 v65, v9, v6, v65                                 // 000000003704: D1CB0041 05060D09
	v_fma_f32 v66, v10, v6, v66                                // 00000000370C: D1CB0042 050A0D0A
	v_fma_f32 v67, v11, v6, v67                                // 000000003714: D1CB0043 050E0D0B
	v_fma_f32 v68, v12, v6, v68                                // 00000000371C: D1CB0044 05120D0C
	v_fma_f32 v69, v13, v6, v69                                // 000000003724: D1CB0045 05160D0D
	v_fma_f32 v70, v14, v6, v70                                // 00000000372C: D1CB0046 051A0D0E
	v_fma_f32 v71, v15, v6, v71                                // 000000003734: D1CB0047 051E0D0F
	buffer_load_dwordx4 a[32:35], v36, s[24:27], 0 offen       // 00000000373C: E05C1000 80862024
	buffer_load_dwordx4 a[36:39], v36, s[24:27], 0 offen offset:1024// 000000003744: E05C1400 80862424
	buffer_load_dwordx4 a[40:43], v37, s[24:27], 0 offen       // 00000000374C: E05C1000 80862825
	buffer_load_dwordx4 a[44:47], v37, s[24:27], 0 offen offset:1024// 000000003754: E05C1400 80862C25
	s_add_u32 s24, s58, s24                                    // 00000000375C: 8018183A
	s_addc_u32 s25, 0, s25                                     // 000000003760: 82191980
	s_addk_i32 s80, 0x80                                       // 000000003764: B7500080
	s_cmp_lt_i32 s80, s81                                      // 000000003768: BF045150
	s_cbranch_scc0 label_035D                                  // 00000000376C: BF840001
	s_branch label_019E                                        // 000000003770: BF82FE41

0000000000003774 <label_035D>:
	s_cmp_eq_u32 s88, 0                                        // 000000003774: BF068058
	s_cbranch_scc0 label_05EC                                  // 000000003778: BF84028D
	s_cmp_eq_u32 s89, 0                                        // 00000000377C: BF068059
	s_cbranch_scc1 label_0406                                  // 000000003780: BF8500A5
	v_mov_b32_e32 v8, v1                                       // 000000003784: 7E100301
	v_mov_b32_e32 v9, v1                                       // 000000003788: 7E120301
	s_mov_b32 s60, s6                                          // 00000000378C: BEBC0006
	s_mov_b32 s61, s6                                          // 000000003790: BEBD0006
	v_pk_mul_f32 v[4:5], v[40:41], v[40:41]                    // 000000003794: D3B14004 18025128
	v_pk_mul_f32 v[6:7], v[42:43], v[42:43]                    // 00000000379C: D3B14006 1802552A
	v_pk_fma_f32 v[4:5], v[4:5], s[78:79], v[8:9]              // 0000000037A4: D3B04004 1C209D04
	v_pk_fma_f32 v[6:7], v[6:7], s[78:79], v[8:9]              // 0000000037AC: D3B04006 1C209D06
	v_pk_mul_f32 v[4:5], v[4:5], v[40:41]                      // 0000000037B4: D3B14004 18025104
	v_pk_mul_f32 v[6:7], v[6:7], v[42:43]                      // 0000000037BC: D3B14006 18025506
	v_pk_mul_f32 v[4:5], v[4:5], s[60:61]                      // 0000000037C4: D3B14004 18007904
	v_pk_mul_f32 v[6:7], v[6:7], s[60:61]                      // 0000000037CC: D3B14006 18007906
	v_exp_f32_e32 v4, v4                                       // 0000000037D4: 7E084104
	v_exp_f32_e32 v5, v5                                       // 0000000037D8: 7E0A4105
	v_exp_f32_e32 v6, v6                                       // 0000000037DC: 7E0C4106
	v_exp_f32_e32 v7, v7                                       // 0000000037E0: 7E0E4107
	v_add_f32_e64 v4, v4, 1.0                                  // 0000000037E4: D1010004 0001E504
	v_add_f32_e64 v5, v5, 1.0                                  // 0000000037EC: D1010005 0001E505
	v_add_f32_e64 v6, v6, 1.0                                  // 0000000037F4: D1010006 0001E506
	v_add_f32_e64 v7, v7, 1.0                                  // 0000000037FC: D1010007 0001E507
	v_rcp_f32_e32 v4, v4                                       // 000000003804: 7E084504
	v_rcp_f32_e32 v5, v5                                       // 000000003808: 7E0A4505
	v_rcp_f32_e32 v6, v6                                       // 00000000380C: 7E0C4506
	v_rcp_f32_e32 v7, v7                                       // 000000003810: 7E0E4507
	v_mul_f32_e32 v40, v40, v4                                 // 000000003814: 0A500928
	v_mul_f32_e32 v41, v41, v5                                 // 000000003818: 0A520B29
	v_mul_f32_e32 v42, v42, v6                                 // 00000000381C: 0A540D2A
	v_mul_f32_e32 v43, v43, v7                                 // 000000003820: 0A560F2B
	v_mul_f32_e32 v40, v40, v56                                // 000000003824: 0A507128
	v_mul_f32_e32 v41, v41, v57                                // 000000003828: 0A527329
	v_mul_f32_e32 v42, v42, v58                                // 00000000382C: 0A54752A
	v_mul_f32_e32 v43, v43, v59                                // 000000003830: 0A56772B
	v_pk_mul_f32 v[4:5], v[44:45], v[44:45]                    // 000000003834: D3B14004 1802592C
	v_pk_mul_f32 v[6:7], v[46:47], v[46:47]                    // 00000000383C: D3B14006 18025D2E
	v_pk_fma_f32 v[4:5], v[4:5], s[78:79], v[8:9]              // 000000003844: D3B04004 1C209D04
	v_pk_fma_f32 v[6:7], v[6:7], s[78:79], v[8:9]              // 00000000384C: D3B04006 1C209D06
	v_pk_mul_f32 v[4:5], v[4:5], v[44:45]                      // 000000003854: D3B14004 18025904
	v_pk_mul_f32 v[6:7], v[6:7], v[46:47]                      // 00000000385C: D3B14006 18025D06
	v_pk_mul_f32 v[4:5], v[4:5], s[60:61]                      // 000000003864: D3B14004 18007904
	v_pk_mul_f32 v[6:7], v[6:7], s[60:61]                      // 00000000386C: D3B14006 18007906
	v_exp_f32_e32 v4, v4                                       // 000000003874: 7E084104
	v_exp_f32_e32 v5, v5                                       // 000000003878: 7E0A4105
	v_exp_f32_e32 v6, v6                                       // 00000000387C: 7E0C4106
	v_exp_f32_e32 v7, v7                                       // 000000003880: 7E0E4107
	v_add_f32_e64 v4, v4, 1.0                                  // 000000003884: D1010004 0001E504
	v_add_f32_e64 v5, v5, 1.0                                  // 00000000388C: D1010005 0001E505
	v_add_f32_e64 v6, v6, 1.0                                  // 000000003894: D1010006 0001E506
	v_add_f32_e64 v7, v7, 1.0                                  // 00000000389C: D1010007 0001E507
	v_rcp_f32_e32 v4, v4                                       // 0000000038A4: 7E084504
	v_rcp_f32_e32 v5, v5                                       // 0000000038A8: 7E0A4505
	v_rcp_f32_e32 v6, v6                                       // 0000000038AC: 7E0C4506
	v_rcp_f32_e32 v7, v7                                       // 0000000038B0: 7E0E4507
	v_mul_f32_e32 v44, v44, v4                                 // 0000000038B4: 0A58092C
	v_mul_f32_e32 v45, v45, v5                                 // 0000000038B8: 0A5A0B2D
	v_mul_f32_e32 v46, v46, v6                                 // 0000000038BC: 0A5C0D2E
	v_mul_f32_e32 v47, v47, v7                                 // 0000000038C0: 0A5E0F2F
	v_mul_f32_e32 v44, v44, v60                                // 0000000038C4: 0A58792C
	v_mul_f32_e32 v45, v45, v61                                // 0000000038C8: 0A5A7B2D
	v_mul_f32_e32 v46, v46, v62                                // 0000000038CC: 0A5C7D2E
	v_mul_f32_e32 v47, v47, v63                                // 0000000038D0: 0A5E7F2F
	v_pk_mul_f32 v[4:5], v[48:49], v[48:49]                    // 0000000038D4: D3B14004 18026130
	v_pk_mul_f32 v[6:7], v[50:51], v[50:51]                    // 0000000038DC: D3B14006 18026532
	v_pk_fma_f32 v[4:5], v[4:5], s[78:79], v[8:9]              // 0000000038E4: D3B04004 1C209D04
	v_pk_fma_f32 v[6:7], v[6:7], s[78:79], v[8:9]              // 0000000038EC: D3B04006 1C209D06
	v_pk_mul_f32 v[4:5], v[4:5], v[48:49]                      // 0000000038F4: D3B14004 18026104
	v_pk_mul_f32 v[6:7], v[6:7], v[50:51]                      // 0000000038FC: D3B14006 18026506
	v_pk_mul_f32 v[4:5], v[4:5], s[60:61]                      // 000000003904: D3B14004 18007904
	v_pk_mul_f32 v[6:7], v[6:7], s[60:61]                      // 00000000390C: D3B14006 18007906
	v_exp_f32_e32 v4, v4                                       // 000000003914: 7E084104
	v_exp_f32_e32 v5, v5                                       // 000000003918: 7E0A4105
	v_exp_f32_e32 v6, v6                                       // 00000000391C: 7E0C4106
	v_exp_f32_e32 v7, v7                                       // 000000003920: 7E0E4107
	v_add_f32_e64 v4, v4, 1.0                                  // 000000003924: D1010004 0001E504
	v_add_f32_e64 v5, v5, 1.0                                  // 00000000392C: D1010005 0001E505
	v_add_f32_e64 v6, v6, 1.0                                  // 000000003934: D1010006 0001E506
	v_add_f32_e64 v7, v7, 1.0                                  // 00000000393C: D1010007 0001E507
	v_rcp_f32_e32 v4, v4                                       // 000000003944: 7E084504
	v_rcp_f32_e32 v5, v5                                       // 000000003948: 7E0A4505
	v_rcp_f32_e32 v6, v6                                       // 00000000394C: 7E0C4506
	v_rcp_f32_e32 v7, v7                                       // 000000003950: 7E0E4507
	v_mul_f32_e32 v48, v48, v4                                 // 000000003954: 0A600930
	v_mul_f32_e32 v49, v49, v5                                 // 000000003958: 0A620B31
	v_mul_f32_e32 v50, v50, v6                                 // 00000000395C: 0A640D32
	v_mul_f32_e32 v51, v51, v7                                 // 000000003960: 0A660F33
	v_mul_f32_e32 v48, v48, v64                                // 000000003964: 0A608130
	v_mul_f32_e32 v49, v49, v65                                // 000000003968: 0A628331
	v_mul_f32_e32 v50, v50, v66                                // 00000000396C: 0A648532
	v_mul_f32_e32 v51, v51, v67                                // 000000003970: 0A668733
	v_pk_mul_f32 v[4:5], v[52:53], v[52:53]                    // 000000003974: D3B14004 18026934
	v_pk_mul_f32 v[6:7], v[54:55], v[54:55]                    // 00000000397C: D3B14006 18026D36
	v_pk_fma_f32 v[4:5], v[4:5], s[78:79], v[8:9]              // 000000003984: D3B04004 1C209D04
	v_pk_fma_f32 v[6:7], v[6:7], s[78:79], v[8:9]              // 00000000398C: D3B04006 1C209D06
	v_pk_mul_f32 v[4:5], v[4:5], v[52:53]                      // 000000003994: D3B14004 18026904
	v_pk_mul_f32 v[6:7], v[6:7], v[54:55]                      // 00000000399C: D3B14006 18026D06
	v_pk_mul_f32 v[4:5], v[4:5], s[60:61]                      // 0000000039A4: D3B14004 18007904
	v_pk_mul_f32 v[6:7], v[6:7], s[60:61]                      // 0000000039AC: D3B14006 18007906
	v_exp_f32_e32 v4, v4                                       // 0000000039B4: 7E084104
	v_exp_f32_e32 v5, v5                                       // 0000000039B8: 7E0A4105
	v_exp_f32_e32 v6, v6                                       // 0000000039BC: 7E0C4106
	v_exp_f32_e32 v7, v7                                       // 0000000039C0: 7E0E4107
	v_add_f32_e64 v4, v4, 1.0                                  // 0000000039C4: D1010004 0001E504
	v_add_f32_e64 v5, v5, 1.0                                  // 0000000039CC: D1010005 0001E505
	v_add_f32_e64 v6, v6, 1.0                                  // 0000000039D4: D1010006 0001E506
	v_add_f32_e64 v7, v7, 1.0                                  // 0000000039DC: D1010007 0001E507
	v_rcp_f32_e32 v4, v4                                       // 0000000039E4: 7E084504
	v_rcp_f32_e32 v5, v5                                       // 0000000039E8: 7E0A4505
	v_rcp_f32_e32 v6, v6                                       // 0000000039EC: 7E0C4506
	v_rcp_f32_e32 v7, v7                                       // 0000000039F0: 7E0E4507
	v_mul_f32_e32 v52, v52, v4                                 // 0000000039F4: 0A680934
	v_mul_f32_e32 v53, v53, v5                                 // 0000000039F8: 0A6A0B35
	v_mul_f32_e32 v54, v54, v6                                 // 0000000039FC: 0A6C0D36
	v_mul_f32_e32 v55, v55, v7                                 // 000000003A00: 0A6E0F37
	v_mul_f32_e32 v52, v52, v68                                // 000000003A04: 0A688934
	v_mul_f32_e32 v53, v53, v69                                // 000000003A08: 0A6A8B35
	v_mul_f32_e32 v54, v54, v70                                // 000000003A0C: 0A6C8D36
	v_mul_f32_e32 v55, v55, v71                                // 000000003A10: 0A6E8F37
	s_branch label_0486                                        // 000000003A14: BF820080

0000000000003a18 <label_0406>:
	v_mul_f32_e64 v4, -v40, s6                                 // 000000003A18: D1050004 20000D28
	v_mul_f32_e64 v5, -v41, s6                                 // 000000003A20: D1050005 20000D29
	v_mul_f32_e64 v6, -v42, s6                                 // 000000003A28: D1050006 20000D2A
	v_mul_f32_e64 v7, -v43, s6                                 // 000000003A30: D1050007 20000D2B
	v_exp_f32_e32 v4, v4                                       // 000000003A38: 7E084104
	v_exp_f32_e32 v5, v5                                       // 000000003A3C: 7E0A4105
	v_exp_f32_e32 v6, v6                                       // 000000003A40: 7E0C4106
	v_exp_f32_e32 v7, v7                                       // 000000003A44: 7E0E4107
	v_add_f32_e64 v4, v4, 1.0                                  // 000000003A48: D1010004 0001E504
	v_add_f32_e64 v5, v5, 1.0                                  // 000000003A50: D1010005 0001E505
	v_add_f32_e64 v6, v6, 1.0                                  // 000000003A58: D1010006 0001E506
	v_add_f32_e64 v7, v7, 1.0                                  // 000000003A60: D1010007 0001E507
	v_rcp_f32_e32 v4, v4                                       // 000000003A68: 7E084504
	v_rcp_f32_e32 v5, v5                                       // 000000003A6C: 7E0A4505
	v_rcp_f32_e32 v6, v6                                       // 000000003A70: 7E0C4506
	v_rcp_f32_e32 v7, v7                                       // 000000003A74: 7E0E4507
	v_mul_f32_e32 v40, v40, v4                                 // 000000003A78: 0A500928
	v_mul_f32_e32 v41, v41, v5                                 // 000000003A7C: 0A520B29
	v_mul_f32_e32 v42, v42, v6                                 // 000000003A80: 0A540D2A
	v_mul_f32_e32 v43, v43, v7                                 // 000000003A84: 0A560F2B
	v_mul_f32_e32 v40, v40, v56                                // 000000003A88: 0A507128
	v_mul_f32_e32 v41, v41, v57                                // 000000003A8C: 0A527329
	v_mul_f32_e32 v42, v42, v58                                // 000000003A90: 0A54752A
	v_mul_f32_e32 v43, v43, v59                                // 000000003A94: 0A56772B
	v_mul_f32_e64 v4, -v44, s6                                 // 000000003A98: D1050004 20000D2C
	v_mul_f32_e64 v5, -v45, s6                                 // 000000003AA0: D1050005 20000D2D
	v_mul_f32_e64 v6, -v46, s6                                 // 000000003AA8: D1050006 20000D2E
	v_mul_f32_e64 v7, -v47, s6                                 // 000000003AB0: D1050007 20000D2F
	v_exp_f32_e32 v4, v4                                       // 000000003AB8: 7E084104
	v_exp_f32_e32 v5, v5                                       // 000000003ABC: 7E0A4105
	v_exp_f32_e32 v6, v6                                       // 000000003AC0: 7E0C4106
	v_exp_f32_e32 v7, v7                                       // 000000003AC4: 7E0E4107
	v_add_f32_e64 v4, v4, 1.0                                  // 000000003AC8: D1010004 0001E504
	v_add_f32_e64 v5, v5, 1.0                                  // 000000003AD0: D1010005 0001E505
	v_add_f32_e64 v6, v6, 1.0                                  // 000000003AD8: D1010006 0001E506
	v_add_f32_e64 v7, v7, 1.0                                  // 000000003AE0: D1010007 0001E507
	v_rcp_f32_e32 v4, v4                                       // 000000003AE8: 7E084504
	v_rcp_f32_e32 v5, v5                                       // 000000003AEC: 7E0A4505
	v_rcp_f32_e32 v6, v6                                       // 000000003AF0: 7E0C4506
	v_rcp_f32_e32 v7, v7                                       // 000000003AF4: 7E0E4507
	v_mul_f32_e32 v44, v44, v4                                 // 000000003AF8: 0A58092C
	v_mul_f32_e32 v45, v45, v5                                 // 000000003AFC: 0A5A0B2D
	v_mul_f32_e32 v46, v46, v6                                 // 000000003B00: 0A5C0D2E
	v_mul_f32_e32 v47, v47, v7                                 // 000000003B04: 0A5E0F2F
	v_mul_f32_e32 v44, v44, v60                                // 000000003B08: 0A58792C
	v_mul_f32_e32 v45, v45, v61                                // 000000003B0C: 0A5A7B2D
	v_mul_f32_e32 v46, v46, v62                                // 000000003B10: 0A5C7D2E
	v_mul_f32_e32 v47, v47, v63                                // 000000003B14: 0A5E7F2F
	v_mul_f32_e64 v4, -v48, s6                                 // 000000003B18: D1050004 20000D30
	v_mul_f32_e64 v5, -v49, s6                                 // 000000003B20: D1050005 20000D31
	v_mul_f32_e64 v6, -v50, s6                                 // 000000003B28: D1050006 20000D32
	v_mul_f32_e64 v7, -v51, s6                                 // 000000003B30: D1050007 20000D33
	v_exp_f32_e32 v4, v4                                       // 000000003B38: 7E084104
	v_exp_f32_e32 v5, v5                                       // 000000003B3C: 7E0A4105
	v_exp_f32_e32 v6, v6                                       // 000000003B40: 7E0C4106
	v_exp_f32_e32 v7, v7                                       // 000000003B44: 7E0E4107
	v_add_f32_e64 v4, v4, 1.0                                  // 000000003B48: D1010004 0001E504
	v_add_f32_e64 v5, v5, 1.0                                  // 000000003B50: D1010005 0001E505
	v_add_f32_e64 v6, v6, 1.0                                  // 000000003B58: D1010006 0001E506
	v_add_f32_e64 v7, v7, 1.0                                  // 000000003B60: D1010007 0001E507
	v_rcp_f32_e32 v4, v4                                       // 000000003B68: 7E084504
	v_rcp_f32_e32 v5, v5                                       // 000000003B6C: 7E0A4505
	v_rcp_f32_e32 v6, v6                                       // 000000003B70: 7E0C4506
	v_rcp_f32_e32 v7, v7                                       // 000000003B74: 7E0E4507
	v_mul_f32_e32 v48, v48, v4                                 // 000000003B78: 0A600930
	v_mul_f32_e32 v49, v49, v5                                 // 000000003B7C: 0A620B31
	v_mul_f32_e32 v50, v50, v6                                 // 000000003B80: 0A640D32
	v_mul_f32_e32 v51, v51, v7                                 // 000000003B84: 0A660F33
	v_mul_f32_e32 v48, v48, v64                                // 000000003B88: 0A608130
	v_mul_f32_e32 v49, v49, v65                                // 000000003B8C: 0A628331
	v_mul_f32_e32 v50, v50, v66                                // 000000003B90: 0A648532
	v_mul_f32_e32 v51, v51, v67                                // 000000003B94: 0A668733
	v_mul_f32_e64 v4, -v52, s6                                 // 000000003B98: D1050004 20000D34
	v_mul_f32_e64 v5, -v53, s6                                 // 000000003BA0: D1050005 20000D35
	v_mul_f32_e64 v6, -v54, s6                                 // 000000003BA8: D1050006 20000D36
	v_mul_f32_e64 v7, -v55, s6                                 // 000000003BB0: D1050007 20000D37
	v_exp_f32_e32 v4, v4                                       // 000000003BB8: 7E084104
	v_exp_f32_e32 v5, v5                                       // 000000003BBC: 7E0A4105
	v_exp_f32_e32 v6, v6                                       // 000000003BC0: 7E0C4106
	v_exp_f32_e32 v7, v7                                       // 000000003BC4: 7E0E4107
	v_add_f32_e64 v4, v4, 1.0                                  // 000000003BC8: D1010004 0001E504
	v_add_f32_e64 v5, v5, 1.0                                  // 000000003BD0: D1010005 0001E505
	v_add_f32_e64 v6, v6, 1.0                                  // 000000003BD8: D1010006 0001E506
	v_add_f32_e64 v7, v7, 1.0                                  // 000000003BE0: D1010007 0001E507
	v_rcp_f32_e32 v4, v4                                       // 000000003BE8: 7E084504
	v_rcp_f32_e32 v5, v5                                       // 000000003BEC: 7E0A4505
	v_rcp_f32_e32 v6, v6                                       // 000000003BF0: 7E0C4506
	v_rcp_f32_e32 v7, v7                                       // 000000003BF4: 7E0E4507
	v_mul_f32_e32 v52, v52, v4                                 // 000000003BF8: 0A680934
	v_mul_f32_e32 v53, v53, v5                                 // 000000003BFC: 0A6A0B35
	v_mul_f32_e32 v54, v54, v6                                 // 000000003C00: 0A6C0D36
	v_mul_f32_e32 v55, v55, v7                                 // 000000003C04: 0A6E0F37
	v_mul_f32_e32 v52, v52, v68                                // 000000003C08: 0A688934
	v_mul_f32_e32 v53, v53, v69                                // 000000003C0C: 0A6A8B35
	v_mul_f32_e32 v54, v54, v70                                // 000000003C10: 0A6C8D36
	v_mul_f32_e32 v55, v55, v71                                // 000000003C14: 0A6E8F37

0000000000003c18 <label_0486>:
	s_cmp_eq_u32 s7, 0                                         // 000000003C18: BF068007
	s_cbranch_scc0 label_048D                                  // 000000003C1C: BF840005
	v_and_b32_e32 v4, 15, v0                                   // 000000003C20: 2608008F
	v_lshlrev_b32_e32 v4, 2, v4                                // 000000003C24: 24080882
	buffer_load_dword v28, v4, s[12:15], 0 offen               // 000000003C28: E0501000 80031C04
	v_add_u32_e32 v4, 64, v4                                   // 000000003C30: 680808C0

0000000000003c34 <label_048D>:
	v_lshlrev_b32_e32 v4, 2, v0                                // 000000003C34: 24080082
	s_mul_i32 s60, 0x100, s7                                   // 000000003C38: 923C07FF 00000100
	v_add_u32_e32 v58, s60, v4                                 // 000000003C40: 6874083C
	v_and_b32_e32 v4, 15, v0                                   // 000000003C44: 2608008F
	v_lshlrev_b32_e32 v59, 2, v4                               // 000000003C48: 24760882
	s_waitcnt lgkmcnt(0)                                       // 000000003C4C: BF8CC07F
	s_barrier                                                  // 000000003C50: BF8A0000
	v_mov_b32_e32 v56, 0x358637bd                              // 000000003C54: 7E7002FF 358637BD
	v_max3_f32 v56, |v40|, |v41|, v56                          // 000000003C5C: D1D30338 04E25328
	v_max3_f32 v56, |v42|, |v43|, v56                          // 000000003C64: D1D30338 04E2572A
	v_max3_f32 v56, |v44|, |v45|, v56                          // 000000003C6C: D1D30338 04E25B2C
	v_max3_f32 v56, |v46|, |v47|, v56                          // 000000003C74: D1D30338 04E25F2E
	ds_write_b32 v58, v56                                      // 000000003C7C: D81A0000 0000383A
	s_waitcnt lgkmcnt(0)                                       // 000000003C84: BF8CC07F
	s_barrier                                                  // 000000003C88: BF8A0000
	ds_read_b32 v4, v59                                        // 000000003C8C: D86C0000 0400003B
	ds_read_b32 v5, v59 offset:64                              // 000000003C94: D86C0040 0500003B
	ds_read_b32 v6, v59 offset:128                             // 000000003C9C: D86C0080 0600003B
	ds_read_b32 v7, v59 offset:192                             // 000000003CA4: D86C00C0 0700003B
	ds_read_b32 v8, v59 offset:256                             // 000000003CAC: D86C0100 0800003B
	ds_read_b32 v9, v59 offset:320                             // 000000003CB4: D86C0140 0900003B
	ds_read_b32 v10, v59 offset:384                            // 000000003CBC: D86C0180 0A00003B
	ds_read_b32 v11, v59 offset:448                            // 000000003CC4: D86C01C0 0B00003B
	ds_read_b32 v12, v59 offset:512                            // 000000003CCC: D86C0200 0C00003B
	ds_read_b32 v13, v59 offset:576                            // 000000003CD4: D86C0240 0D00003B
	ds_read_b32 v14, v59 offset:640                            // 000000003CDC: D86C0280 0E00003B
	ds_read_b32 v15, v59 offset:704                            // 000000003CE4: D86C02C0 0F00003B
	ds_read_b32 v16, v59 offset:768                            // 000000003CEC: D86C0300 1000003B
	ds_read_b32 v17, v59 offset:832                            // 000000003CF4: D86C0340 1100003B
	ds_read_b32 v18, v59 offset:896                            // 000000003CFC: D86C0380 1200003B
	ds_read_b32 v19, v59 offset:960                            // 000000003D04: D86C03C0 1300003B
	s_waitcnt lgkmcnt(0)                                       // 000000003D0C: BF8CC07F
	s_barrier                                                  // 000000003D10: BF8A0000
	v_max3_f32 v56, |v4|, |v5|, v56                            // 000000003D14: D1D30338 04E20B04
	v_max3_f32 v56, |v6|, |v7|, v56                            // 000000003D1C: D1D30338 04E20F06
	v_max3_f32 v56, |v8|, |v9|, v56                            // 000000003D24: D1D30338 04E21308
	v_max3_f32 v56, |v10|, |v11|, v56                          // 000000003D2C: D1D30338 04E2170A
	v_max3_f32 v56, |v12|, |v13|, v56                          // 000000003D34: D1D30338 04E21B0C
	v_max3_f32 v56, |v14|, |v15|, v56                          // 000000003D3C: D1D30338 04E21F0E
	v_max3_f32 v56, |v16|, |v17|, v56                          // 000000003D44: D1D30338 04E22310
	v_max3_f32 v56, |v18|, |v19|, v56                          // 000000003D4C: D1D30338 04E22712
	v_rcp_f32_e32 v56, v56                                     // 000000003D54: 7E704538
	v_mov_b32_e32 v4, 0x43700000                               // 000000003D58: 7E0802FF 43700000
	v_mul_f32_e32 v56, v4, v56                                 // 000000003D60: 0A707104
	v_mov_b32_e32 v4, v56                                      // 000000003D64: 7E080338
	v_mov_b32_e32 v5, v4                                       // 000000003D68: 7E0A0304
	v_pk_mul_f32 v[40:41], v[4:5], v[40:41]                    // 000000003D6C: D3B14028 18025104
	v_pk_mul_f32 v[42:43], v[4:5], v[42:43]                    // 000000003D74: D3B1402A 18025504
	v_cvt_pk_fp8_f32 v40, v40, v41                             // 000000003D7C: D2A20028 00025328
	v_cvt_pk_fp8_f32 v40, v42, v43 op_sel:[0,0,1]              // 000000003D84: D2A24028 0002572A
	v_pk_mul_f32 v[44:45], v[4:5], v[44:45]                    // 000000003D8C: D3B1402C 18025904
	v_pk_mul_f32 v[46:47], v[4:5], v[46:47]                    // 000000003D94: D3B1402E 18025D04
	v_cvt_pk_fp8_f32 v44, v44, v45                             // 000000003D9C: D2A2002C 00025B2C
	v_cvt_pk_fp8_f32 v44, v46, v47 op_sel:[0,0,1]              // 000000003DA4: D2A2402C 00025F2E
	v_rcp_f32_e32 v56, v56                                     // 000000003DAC: 7E704538
	v_mov_b32_e32 v57, 0x358637bd                              // 000000003DB0: 7E7202FF 358637BD
	v_max3_f32 v57, |v48|, |v49|, v57                          // 000000003DB8: D1D30339 04E66330
	v_max3_f32 v57, |v50|, |v51|, v57                          // 000000003DC0: D1D30339 04E66732
	v_max3_f32 v57, |v52|, |v53|, v57                          // 000000003DC8: D1D30339 04E66B34
	v_max3_f32 v57, |v54|, |v55|, v57                          // 000000003DD0: D1D30339 04E66F36
	ds_write_b32 v58, v57                                      // 000000003DD8: D81A0000 0000393A
	s_waitcnt lgkmcnt(0)                                       // 000000003DE0: BF8CC07F
	s_barrier                                                  // 000000003DE4: BF8A0000
	ds_read_b32 v4, v59                                        // 000000003DE8: D86C0000 0400003B
	ds_read_b32 v5, v59 offset:64                              // 000000003DF0: D86C0040 0500003B
	ds_read_b32 v6, v59 offset:128                             // 000000003DF8: D86C0080 0600003B
	ds_read_b32 v7, v59 offset:192                             // 000000003E00: D86C00C0 0700003B
	ds_read_b32 v8, v59 offset:256                             // 000000003E08: D86C0100 0800003B
	ds_read_b32 v9, v59 offset:320                             // 000000003E10: D86C0140 0900003B
	ds_read_b32 v10, v59 offset:384                            // 000000003E18: D86C0180 0A00003B
	ds_read_b32 v11, v59 offset:448                            // 000000003E20: D86C01C0 0B00003B
	ds_read_b32 v12, v59 offset:512                            // 000000003E28: D86C0200 0C00003B
	ds_read_b32 v13, v59 offset:576                            // 000000003E30: D86C0240 0D00003B
	ds_read_b32 v14, v59 offset:640                            // 000000003E38: D86C0280 0E00003B
	ds_read_b32 v15, v59 offset:704                            // 000000003E40: D86C02C0 0F00003B
	ds_read_b32 v16, v59 offset:768                            // 000000003E48: D86C0300 1000003B
	ds_read_b32 v17, v59 offset:832                            // 000000003E50: D86C0340 1100003B
	ds_read_b32 v18, v59 offset:896                            // 000000003E58: D86C0380 1200003B
	ds_read_b32 v19, v59 offset:960                            // 000000003E60: D86C03C0 1300003B
	s_waitcnt lgkmcnt(0)                                       // 000000003E68: BF8CC07F
	s_barrier                                                  // 000000003E6C: BF8A0000
	v_max3_f32 v57, |v4|, |v5|, v57                            // 000000003E70: D1D30339 04E60B04
	v_max3_f32 v57, |v6|, |v7|, v57                            // 000000003E78: D1D30339 04E60F06
	v_max3_f32 v57, |v8|, |v9|, v57                            // 000000003E80: D1D30339 04E61308
	v_max3_f32 v57, |v10|, |v11|, v57                          // 000000003E88: D1D30339 04E6170A
	v_max3_f32 v57, |v12|, |v13|, v57                          // 000000003E90: D1D30339 04E61B0C
	v_max3_f32 v57, |v14|, |v15|, v57                          // 000000003E98: D1D30339 04E61F0E
	v_max3_f32 v57, |v16|, |v17|, v57                          // 000000003EA0: D1D30339 04E62310
	v_max3_f32 v57, |v18|, |v19|, v57                          // 000000003EA8: D1D30339 04E62712
	v_rcp_f32_e32 v57, v57                                     // 000000003EB0: 7E724539
	v_mov_b32_e32 v4, 0x43700000                               // 000000003EB4: 7E0802FF 43700000
	v_mul_f32_e32 v57, v4, v57                                 // 000000003EBC: 0A727304
	v_mov_b32_e32 v4, v57                                      // 000000003EC0: 7E080339
	v_mov_b32_e32 v5, v4                                       // 000000003EC4: 7E0A0304
	v_pk_mul_f32 v[48:49], v[4:5], v[48:49]                    // 000000003EC8: D3B14030 18026104
	v_pk_mul_f32 v[50:51], v[4:5], v[50:51]                    // 000000003ED0: D3B14032 18026504
	v_cvt_pk_fp8_f32 v48, v48, v49                             // 000000003ED8: D2A20030 00026330
	v_cvt_pk_fp8_f32 v48, v50, v51 op_sel:[0,0,1]              // 000000003EE0: D2A24030 00026732
	v_pk_mul_f32 v[52:53], v[4:5], v[52:53]                    // 000000003EE8: D3B14034 18026904
	v_pk_mul_f32 v[54:55], v[4:5], v[54:55]                    // 000000003EF0: D3B14036 18026D04
	v_cvt_pk_fp8_f32 v52, v52, v53                             // 000000003EF8: D2A20034 00026B34
	v_cvt_pk_fp8_f32 v52, v54, v55 op_sel:[0,0,1]              // 000000003F00: D2A24034 00026F36
	v_rcp_f32_e32 v57, v57                                     // 000000003F08: 7E724539
	v_lshrrev_b32_e32 v4, 5, v0                                // 000000003F0C: 20080085
	v_mul_lo_u32 v20, 34, v4                                   // 000000003F10: D2850014 000208A2
	v_and_b32_e32 v4, 31, v0                                   // 000000003F18: 2608009F
	v_lshrrev_b32_e32 v5, 4, v4                                // 000000003F1C: 200A0884
	v_add_u32_e32 v20, v5, v20                                 // 000000003F20: 68282905
	v_and_b32_e32 v4, 15, v0                                   // 000000003F24: 2608008F
	v_mul_lo_u32 v5, 2, v4                                     // 000000003F28: D2850005 00020882
	v_add_u32_e32 v20, v5, v20                                 // 000000003F30: 68282905
	s_mul_i32 s60, s7, 0x44                                    // 000000003F34: 923CFF07 00000044
	v_add_u32_e32 v20, s60, v20                                // 000000003F3C: 6828283C
	v_lshlrev_b32_e32 v20, 2, v20                              // 000000003F40: 24282882
	ds_write_b32 v20, v40                                      // 000000003F44: D81A0000 00002814
	ds_write_b32 v20, v44 offset:1088                          // 000000003F4C: D81A0440 00002C14
	ds_write_b32 v20, v48 offset:2176                          // 000000003F54: D81A0880 00003014
	ds_write_b32 v20, v52 offset:3264                          // 000000003F5C: D81A0CC0 00003414
	v_lshrrev_b32_e32 v4, 5, v0                                // 000000003F64: 20080085
	v_xor_b32_e32 v5, 1, v4                                    // 000000003F68: 2A0A0881
	s_mul_i32 s60, s65, 1                                      // 000000003F6C: 923C8141
	s_cmp_eq_u32 s88, 0                                        // 000000003F70: BF068058
	s_cselect_b32 s61, 1, 8                                    // 000000003F74: 853D8881
	s_mul_i32 s60, s61, s60                                    // 000000003F78: 923C3C3D
	v_readlane_b32 s82, v3, 0                                  // 000000003F7C: D2890052 00010103
	s_lshr_b32 s61, s82, 24                                    // 000000003F84: 8F3D9852
	s_and_b32 s82, s82, 0xffffff                               // 000000003F88: 8652FF52 00FFFFFF
	s_mul_i32 s82, s82, s71                                    // 000000003F90: 92524752
	s_mul_i32 s61, s60, s61                                    // 000000003F94: 923D3D3C
	s_add_u32 s82, s82, s61                                    // 000000003F98: 80523D52
	v_mul_lo_u32 v6, v5, s82                                   // 000000003F9C: D2850006 0000A505
	v_readlane_b32 s82, v3, 1                                  // 000000003FA4: D2890052 00010303
	s_lshr_b32 s61, s82, 24                                    // 000000003FAC: 8F3D9852
	s_and_b32 s82, s82, 0xffffff                               // 000000003FB0: 8652FF52 00FFFFFF
	s_mul_i32 s82, s82, s71                                    // 000000003FB8: 92524752
	s_mul_i32 s61, s60, s61                                    // 000000003FBC: 923D3D3C
	s_add_u32 s82, s82, s61                                    // 000000003FC0: 80523D52
	v_mul_lo_u32 v7, v4, s82                                   // 000000003FC4: D2850007 0000A504
	v_add_u32_e32 v32, v6, v7                                  // 000000003FCC: 68400F06
	v_readlane_b32 s82, v3, 2                                  // 000000003FD0: D2890052 00010503
	s_lshr_b32 s61, s82, 24                                    // 000000003FD8: 8F3D9852
	s_and_b32 s82, s82, 0xffffff                               // 000000003FDC: 8652FF52 00FFFFFF
	s_mul_i32 s82, s82, s71                                    // 000000003FE4: 92524752
	s_mul_i32 s61, s60, s61                                    // 000000003FE8: 923D3D3C
	s_add_u32 s82, s82, s61                                    // 000000003FEC: 80523D52
	v_mul_lo_u32 v6, v5, s82                                   // 000000003FF0: D2850006 0000A505
	v_readlane_b32 s82, v3, 3                                  // 000000003FF8: D2890052 00010703
	s_lshr_b32 s61, s82, 24                                    // 000000004000: 8F3D9852
	s_and_b32 s82, s82, 0xffffff                               // 000000004004: 8652FF52 00FFFFFF
	s_mul_i32 s82, s82, s71                                    // 00000000400C: 92524752
	s_mul_i32 s61, s60, s61                                    // 000000004010: 923D3D3C
	s_add_u32 s82, s82, s61                                    // 000000004014: 80523D52
	v_mul_lo_u32 v7, v4, s82                                   // 000000004018: D2850007 0000A504
	v_add_u32_e32 v33, v6, v7                                  // 000000004020: 68420F06
	v_and_b32_e32 v4, 31, v0                                   // 000000004024: 2608009F
	v_lshrrev_b32_e32 v4, 1, v4                                // 000000004028: 20080881
	s_cmp_eq_u32 s88, 0                                        // 00000000402C: BF068058
	s_cselect_b32 s61, 2, 4                                    // 000000004030: 853D8482
	v_mul_lo_u32 v4, v4, s61                                   // 000000004034: D2850004 00007B04
	v_and_b32_e64 v5, v0, 1                                    // 00000000403C: D1130005 00010300
	v_add_u32_e32 v4, v4, v5                                   // 000000004044: 68080B04
	v_lshlrev_b32_e32 v4, 2, v4                                // 000000004048: 24080882
	v_add_u32_e32 v32, v32, v4                                 // 00000000404C: 68400920
	v_add_u32_e32 v33, v33, v4                                 // 000000004050: 68420921
	s_waitcnt lgkmcnt(0)                                       // 000000004054: BF8CC07F
	s_barrier                                                  // 000000004058: BF8A0000
	ds_read_b32 v40, v21                                       // 00000000405C: D86C0000 28000015
	ds_read_b32 v41, v21 offset:64                             // 000000004064: D86C0040 29000015
	ds_read_b32 v42, v21 offset:2176                           // 00000000406C: D86C0880 2A000015
	ds_read_b32 v43, v21 offset:2240                           // 000000004074: D86C08C0 2B000015
	s_waitcnt lgkmcnt(0)                                       // 00000000407C: BF8CC07F
	s_mov_b32 s36, -1                                          // 000000004080: BEA400C1
	s_mov_b32 s37, -1                                          // 000000004084: BEA500C1
	v_mov_b32_e32 v7, 0                                        // 000000004088: 7E0E0280
	s_or_b32 s9, s9, 0x40000                                   // 00000000408C: 8709FF09 00040000
	s_mov_b64 exec, s[36:37]                                   // 000000004094: BEFE0124
	v_mov_b32_e32 v6, v32                                      // 000000004098: 7E0C0320
	s_mov_b64 s[60:61], 0                                      // 00000000409C: BEBC0180
	v_readlane_b32 s82, v3, 0                                  // 0000000040A0: D2890052 00010103
	s_and_b32 s82, s82, 0xffffff                               // 0000000040A8: 8652FF52 00FFFFFF
	s_cmp_lt_u32 s82, s66                                      // 0000000040B0: BF0A4252
	s_cselect_b32 s20, s36, s60                                // 0000000040B4: 85143C24
	v_readlane_b32 s82, v3, 1                                  // 0000000040B8: D2890052 00010303
	s_and_b32 s82, s82, 0xffffff                               // 0000000040C0: 8652FF52 00FFFFFF
	s_cmp_lt_u32 s82, s66                                      // 0000000040C8: BF0A4252
	s_cselect_b32 s21, s36, s60                                // 0000000040CC: 85153C24
	s_mov_b64 exec, s[20:21]                                   // 0000000040D0: BEFE0114
	buffer_store_dword v40, v6, s[8:11], 0 offen               // 0000000040D4: E0701000 80022806
	buffer_store_dword v42, v6, s[8:11], 0 offen offset:128    // 0000000040DC: E0701080 80022A06
	s_mov_b64 exec, s[36:37]                                   // 0000000040E4: BEFE0124
	v_mov_b32_e32 v6, v33                                      // 0000000040E8: 7E0C0321
	s_mov_b64 s[60:61], 0                                      // 0000000040EC: BEBC0180
	v_readlane_b32 s82, v3, 2                                  // 0000000040F0: D2890052 00010503
	s_and_b32 s82, s82, 0xffffff                               // 0000000040F8: 8652FF52 00FFFFFF
	s_cmp_lt_u32 s82, s66                                      // 000000004100: BF0A4252
	s_cselect_b32 s20, s36, s60                                // 000000004104: 85143C24
	v_readlane_b32 s82, v3, 3                                  // 000000004108: D2890052 00010703
	s_and_b32 s82, s82, 0xffffff                               // 000000004110: 8652FF52 00FFFFFF
	s_cmp_lt_u32 s82, s66                                      // 000000004118: BF0A4252
	s_cselect_b32 s21, s36, s60                                // 00000000411C: 85153C24
	s_mov_b64 exec, s[20:21]                                   // 000000004120: BEFE0114
	buffer_store_dword v41, v6, s[8:11], 0 offen               // 000000004124: E0701000 80022906
	buffer_store_dword v43, v6, s[8:11], 0 offen offset:128    // 00000000412C: E0701080 80022B06
	s_mov_b64 exec, s[36:37]                                   // 000000004134: BEFE0124
	s_cmp_eq_u32 s7, 0                                         // 000000004138: BF068007
	s_cbranch_scc0 label_0D29                                  // 00000000413C: BF840756
	s_waitcnt vmcnt(4)                                         // 000000004140: BF8C0F74
	s_mov_b32 s8, s90                                          // 000000004144: BE88005A
	s_mov_b32 s9, s91                                          // 000000004148: BE89005B
	s_mul_i32 s60, s66, s71                                    // 00000000414C: 923C4742
	s_add_u32 s8, s60, s8                                      // 000000004150: 8008083C
	s_addc_u32 s9, 0, s9                                       // 000000004154: 82090980
	s_lshr_b32 s71, s71, 5                                     // 000000004158: 8F478547
	s_mul_i32 s60, s66, s71                                    // 00000000415C: 923C4742
	s_mov_b32 s10, s60                                         // 000000004160: BE8A003C
	s_lshr_b32 s61, s65, 5                                     // 000000004164: 8F3D8541
	s_mul_i32 s60, s2, 8                                       // 000000004168: 923C8802
	v_lshrrev_b32_e32 v4, 24, v28                              // 00000000416C: 20083898
	v_mul_lo_u32 v4, s61, v4                                   // 000000004170: D2850004 0002083D
	v_and_b32_e32 v28, 0xffffff, v28                           // 000000004178: 263838FF 00FFFFFF
	v_mul_lo_u32 v28, s71, v28                                 // 000000004180: D285001C 00023847
	v_add_u32_e32 v28, v4, v28                                 // 000000004188: 68383904
	v_add_u32_e32 v28, s60, v28                                // 00000000418C: 6838383C
	s_mov_b64 exec, 0xffff                                     // 000000004190: BEFE01FF 0000FFFF
	buffer_store_dword v56, v28, s[8:11], 0 offen              // 000000004198: E0701000 8002381C
	buffer_store_dword v57, v28, s[8:11], 0 offen offset:4     // 0000000041A0: E0701004 8002391C
	s_mov_b64 exec, s[36:37]                                   // 0000000041A8: BEFE0124
	s_branch label_0D29                                        // 0000000041AC: BF82073A

00000000000041b0 <label_05EC>:
	ds_write_b64 v20, v[40:41]                                 // 0000000041B0: D89A0000 00002814
	ds_write_b64 v20, v[44:45] offset:2176                     // 0000000041B8: D89A0880 00002C14
	ds_write_b64 v20, v[48:49] offset:4352                     // 0000000041C0: D89A1100 00003014
	ds_write_b64 v20, v[52:53] offset:6528                     // 0000000041C8: D89A1980 00003414
	v_lshrrev_b32_e32 v4, 5, v0                                // 0000000041D0: 20080085
	v_xor_b32_e32 v5, 1, v4                                    // 0000000041D4: 2A0A0881
	s_mul_i32 s60, s65, 1                                      // 0000000041D8: 923C8141
	s_cmp_eq_u32 s88, 0                                        // 0000000041DC: BF068058
	s_cselect_b32 s61, 1, 8                                    // 0000000041E0: 853D8881
	s_mul_i32 s60, s61, s60                                    // 0000000041E4: 923C3C3D
	v_readlane_b32 s82, v3, 0                                  // 0000000041E8: D2890052 00010103
	s_lshr_b32 s61, s82, 24                                    // 0000000041F0: 8F3D9852
	s_and_b32 s82, s82, 0xffffff                               // 0000000041F4: 8652FF52 00FFFFFF
	s_mul_i32 s82, s82, s71                                    // 0000000041FC: 92524752
	s_mul_i32 s61, s60, s61                                    // 000000004200: 923D3D3C
	s_add_u32 s82, s82, s61                                    // 000000004204: 80523D52
	v_mul_lo_u32 v6, v5, s82                                   // 000000004208: D2850006 0000A505
	v_readlane_b32 s82, v3, 1                                  // 000000004210: D2890052 00010303
	s_lshr_b32 s61, s82, 24                                    // 000000004218: 8F3D9852
	s_and_b32 s82, s82, 0xffffff                               // 00000000421C: 8652FF52 00FFFFFF
	s_mul_i32 s82, s82, s71                                    // 000000004224: 92524752
	s_mul_i32 s61, s60, s61                                    // 000000004228: 923D3D3C
	s_add_u32 s82, s82, s61                                    // 00000000422C: 80523D52
	v_mul_lo_u32 v7, v4, s82                                   // 000000004230: D2850007 0000A504
	v_add_u32_e32 v32, v6, v7                                  // 000000004238: 68400F06
	v_readlane_b32 s82, v3, 2                                  // 00000000423C: D2890052 00010503
	s_lshr_b32 s61, s82, 24                                    // 000000004244: 8F3D9852
	s_and_b32 s82, s82, 0xffffff                               // 000000004248: 8652FF52 00FFFFFF
	s_mul_i32 s82, s82, s71                                    // 000000004250: 92524752
	s_mul_i32 s61, s60, s61                                    // 000000004254: 923D3D3C
	s_add_u32 s82, s82, s61                                    // 000000004258: 80523D52
	v_mul_lo_u32 v6, v5, s82                                   // 00000000425C: D2850006 0000A505
	v_readlane_b32 s82, v3, 3                                  // 000000004264: D2890052 00010703
	s_lshr_b32 s61, s82, 24                                    // 00000000426C: 8F3D9852
	s_and_b32 s82, s82, 0xffffff                               // 000000004270: 8652FF52 00FFFFFF
	s_mul_i32 s82, s82, s71                                    // 000000004278: 92524752
	s_mul_i32 s61, s60, s61                                    // 00000000427C: 923D3D3C
	s_add_u32 s82, s82, s61                                    // 000000004280: 80523D52
	v_mul_lo_u32 v7, v4, s82                                   // 000000004284: D2850007 0000A504
	v_add_u32_e32 v33, v6, v7                                  // 00000000428C: 68420F06
	v_and_b32_e32 v4, 31, v0                                   // 000000004290: 2608009F
	v_lshrrev_b32_e32 v4, 1, v4                                // 000000004294: 20080881
	s_cmp_eq_u32 s88, 0                                        // 000000004298: BF068058
	s_cselect_b32 s61, 2, 4                                    // 00000000429C: 853D8482
	v_mul_lo_u32 v4, v4, s61                                   // 0000000042A0: D2850004 00007B04
	v_and_b32_e64 v5, v0, 1                                    // 0000000042A8: D1130005 00010300
	v_add_u32_e32 v4, v4, v5                                   // 0000000042B0: 68080B04
	v_lshlrev_b32_e32 v4, 2, v4                                // 0000000042B4: 24080882
	v_add_u32_e32 v32, v32, v4                                 // 0000000042B8: 68400920
	v_add_u32_e32 v33, v33, v4                                 // 0000000042BC: 68420921
	s_waitcnt lgkmcnt(0)                                       // 0000000042C0: BF8CC07F
	s_barrier                                                  // 0000000042C4: BF8A0000
	ds_read_b32 v40, v21                                       // 0000000042C8: D86C0000 28000015
	ds_read_b32 v41, v21 offset:64                             // 0000000042D0: D86C0040 29000015
	ds_read_b32 v44, v21 offset:2176                           // 0000000042D8: D86C0880 2C000015
	ds_read_b32 v45, v21 offset:2240                           // 0000000042E0: D86C08C0 2D000015
	ds_read_b32 v48, v21 offset:4352                           // 0000000042E8: D86C1100 30000015
	ds_read_b32 v49, v21 offset:4416                           // 0000000042F0: D86C1140 31000015
	ds_read_b32 v52, v21 offset:6528                           // 0000000042F8: D86C1980 34000015
	ds_read_b32 v53, v21 offset:6592                           // 000000004300: D86C19C0 35000015
	s_waitcnt lgkmcnt(0)                                       // 000000004308: BF8CC07F
	s_mov_b32 s36, -1                                          // 00000000430C: BEA400C1
	s_mov_b32 s37, -1                                          // 000000004310: BEA500C1
	v_mov_b32_e32 v7, 0                                        // 000000004314: 7E0E0280
	s_mov_b64 exec, s[36:37]                                   // 000000004318: BEFE0124
	v_mov_b32_e32 v6, v32                                      // 00000000431C: 7E0C0320
	s_mov_b64 s[60:61], 0                                      // 000000004320: BEBC0180
	v_readlane_b32 s82, v3, 0                                  // 000000004324: D2890052 00010103
	s_and_b32 s82, s82, 0xffffff                               // 00000000432C: 8652FF52 00FFFFFF
	s_cmp_lt_u32 s82, s66                                      // 000000004334: BF0A4252
	s_cselect_b32 s20, s36, s60                                // 000000004338: 85143C24
	v_readlane_b32 s82, v3, 1                                  // 00000000433C: D2890052 00010303
	s_and_b32 s82, s82, 0xffffff                               // 000000004344: 8652FF52 00FFFFFF
	s_cmp_lt_u32 s82, s66                                      // 00000000434C: BF0A4252
	s_cselect_b32 s21, s36, s60                                // 000000004350: 85153C24
	s_mov_b64 exec, s[20:21]                                   // 000000004354: BEFE0114
	global_atomic_add_f32 v6, v40, s[8:9]                      // 000000004358: DD348000 00082806
	global_atomic_add_f32 v6, v44, s[8:9] offset:256           // 000000004360: DD348100 00082C06
	global_atomic_add_f32 v6, v48, s[8:9] offset:512           // 000000004368: DD348200 00083006
	global_atomic_add_f32 v6, v52, s[8:9] offset:768           // 000000004370: DD348300 00083406
	s_mov_b64 exec, s[36:37]                                   // 000000004378: BEFE0124
	v_mov_b32_e32 v6, v33                                      // 00000000437C: 7E0C0321
	s_mov_b64 s[60:61], 0                                      // 000000004380: BEBC0180
	v_readlane_b32 s82, v3, 2                                  // 000000004384: D2890052 00010503
	s_and_b32 s82, s82, 0xffffff                               // 00000000438C: 8652FF52 00FFFFFF
	s_cmp_lt_u32 s82, s66                                      // 000000004394: BF0A4252
	s_cselect_b32 s20, s36, s60                                // 000000004398: 85143C24
	v_readlane_b32 s82, v3, 3                                  // 00000000439C: D2890052 00010703
	s_and_b32 s82, s82, 0xffffff                               // 0000000043A4: 8652FF52 00FFFFFF
	s_cmp_lt_u32 s82, s66                                      // 0000000043AC: BF0A4252
	s_cselect_b32 s21, s36, s60                                // 0000000043B0: 85153C24
	s_mov_b64 exec, s[20:21]                                   // 0000000043B4: BEFE0114
	global_atomic_add_f32 v6, v41, s[8:9]                      // 0000000043B8: DD348000 00082906
	global_atomic_add_f32 v6, v45, s[8:9] offset:256           // 0000000043C0: DD348100 00082D06
	global_atomic_add_f32 v6, v49, s[8:9] offset:512           // 0000000043C8: DD348200 00083106
	global_atomic_add_f32 v6, v53, s[8:9] offset:768           // 0000000043D0: DD348300 00083506
	s_mov_b64 exec, s[36:37]                                   // 0000000043D8: BEFE0124
	ds_write_b64 v20, v[42:43]                                 // 0000000043DC: D89A0000 00002A14
	ds_write_b64 v20, v[46:47] offset:2176                     // 0000000043E4: D89A0880 00002E14
	ds_write_b64 v20, v[50:51] offset:4352                     // 0000000043EC: D89A1100 00003214
	ds_write_b64 v20, v[54:55] offset:6528                     // 0000000043F4: D89A1980 00003614
	s_waitcnt lgkmcnt(0)                                       // 0000000043FC: BF8CC07F
	s_barrier                                                  // 000000004400: BF8A0000
	ds_read_b32 v42, v21                                       // 000000004404: D86C0000 2A000015
	ds_read_b32 v43, v21 offset:64                             // 00000000440C: D86C0040 2B000015
	ds_read_b32 v46, v21 offset:2176                           // 000000004414: D86C0880 2E000015
	ds_read_b32 v47, v21 offset:2240                           // 00000000441C: D86C08C0 2F000015
	ds_read_b32 v50, v21 offset:4352                           // 000000004424: D86C1100 32000015
	ds_read_b32 v51, v21 offset:4416                           // 00000000442C: D86C1140 33000015
	ds_read_b32 v54, v21 offset:6528                           // 000000004434: D86C1980 36000015
	ds_read_b32 v55, v21 offset:6592                           // 00000000443C: D86C19C0 37000015
	s_waitcnt lgkmcnt(0)                                       // 000000004444: BF8CC07F
	v_mov_b32_e32 v7, 0                                        // 000000004448: 7E0E0280
	s_mov_b64 exec, s[36:37]                                   // 00000000444C: BEFE0124
	v_mov_b32_e32 v6, v32                                      // 000000004450: 7E0C0320
	s_mov_b64 s[60:61], 0                                      // 000000004454: BEBC0180
	v_readlane_b32 s82, v3, 0                                  // 000000004458: D2890052 00010103
	s_and_b32 s82, s82, 0xffffff                               // 000000004460: 8652FF52 00FFFFFF
	s_cmp_lt_u32 s82, s66                                      // 000000004468: BF0A4252
	s_cselect_b32 s20, s36, s60                                // 00000000446C: 85143C24
	v_readlane_b32 s82, v3, 1                                  // 000000004470: D2890052 00010303
	s_and_b32 s82, s82, 0xffffff                               // 000000004478: 8652FF52 00FFFFFF
	s_cmp_lt_u32 s82, s66                                      // 000000004480: BF0A4252
	s_cselect_b32 s21, s36, s60                                // 000000004484: 85153C24
	s_mov_b64 exec, s[20:21]                                   // 000000004488: BEFE0114
	global_atomic_add_f32 v6, v42, s[8:9] offset:8             // 00000000448C: DD348008 00082A06
	global_atomic_add_f32 v6, v46, s[8:9] offset:264           // 000000004494: DD348108 00082E06
	global_atomic_add_f32 v6, v50, s[8:9] offset:520           // 00000000449C: DD348208 00083206
	global_atomic_add_f32 v6, v54, s[8:9] offset:776           // 0000000044A4: DD348308 00083606
	s_mov_b64 exec, s[36:37]                                   // 0000000044AC: BEFE0124
	v_mov_b32_e32 v6, v33                                      // 0000000044B0: 7E0C0321
	s_mov_b64 s[60:61], 0                                      // 0000000044B4: BEBC0180
	v_readlane_b32 s82, v3, 2                                  // 0000000044B8: D2890052 00010503
	s_and_b32 s82, s82, 0xffffff                               // 0000000044C0: 8652FF52 00FFFFFF
	s_cmp_lt_u32 s82, s66                                      // 0000000044C8: BF0A4252
	s_cselect_b32 s20, s36, s60                                // 0000000044CC: 85143C24
	v_readlane_b32 s82, v3, 3                                  // 0000000044D0: D2890052 00010703
	s_and_b32 s82, s82, 0xffffff                               // 0000000044D8: 8652FF52 00FFFFFF
	s_cmp_lt_u32 s82, s66                                      // 0000000044E0: BF0A4252
	s_cselect_b32 s21, s36, s60                                // 0000000044E4: 85153C24
	s_mov_b64 exec, s[20:21]                                   // 0000000044E8: BEFE0114
	global_atomic_add_f32 v6, v43, s[8:9] offset:8             // 0000000044EC: DD348008 00082B06
	global_atomic_add_f32 v6, v47, s[8:9] offset:264           // 0000000044F4: DD348108 00082F06
	global_atomic_add_f32 v6, v51, s[8:9] offset:520           // 0000000044FC: DD348208 00083306
	global_atomic_add_f32 v6, v55, s[8:9] offset:776           // 000000004504: DD348308 00083706
	s_mov_b64 exec, s[36:37]                                   // 00000000450C: BEFE0124
	ds_write_b64 v20, v[56:57]                                 // 000000004510: D89A0000 00003814
	ds_write_b64 v20, v[60:61] offset:2176                     // 000000004518: D89A0880 00003C14
	ds_write_b64 v20, v[64:65] offset:4352                     // 000000004520: D89A1100 00004014
	ds_write_b64 v20, v[68:69] offset:6528                     // 000000004528: D89A1980 00004414
	s_waitcnt lgkmcnt(0)                                       // 000000004530: BF8CC07F
	s_barrier                                                  // 000000004534: BF8A0000
	ds_read_b32 v56, v21                                       // 000000004538: D86C0000 38000015
	ds_read_b32 v57, v21 offset:64                             // 000000004540: D86C0040 39000015
	ds_read_b32 v60, v21 offset:2176                           // 000000004548: D86C0880 3C000015
	ds_read_b32 v61, v21 offset:2240                           // 000000004550: D86C08C0 3D000015
	ds_read_b32 v64, v21 offset:4352                           // 000000004558: D86C1100 40000015
	ds_read_b32 v65, v21 offset:4416                           // 000000004560: D86C1140 41000015
	ds_read_b32 v68, v21 offset:6528                           // 000000004568: D86C1980 44000015
	ds_read_b32 v69, v21 offset:6592                           // 000000004570: D86C19C0 45000015
	s_mul_i32 s60, s65, 4                                      // 000000004578: 923C8441
	s_add_u32 s8, s60, s8                                      // 00000000457C: 8008083C
	s_addc_u32 s9, 0, s9                                       // 000000004580: 82090980
	s_waitcnt lgkmcnt(0)                                       // 000000004584: BF8CC07F
	v_mov_b32_e32 v7, 0                                        // 000000004588: 7E0E0280
	s_mov_b64 exec, s[36:37]                                   // 00000000458C: BEFE0124
	v_mov_b32_e32 v6, v32                                      // 000000004590: 7E0C0320
	s_mov_b64 s[60:61], 0                                      // 000000004594: BEBC0180
	v_readlane_b32 s82, v3, 0                                  // 000000004598: D2890052 00010103
	s_and_b32 s82, s82, 0xffffff                               // 0000000045A0: 8652FF52 00FFFFFF
	s_cmp_lt_u32 s82, s66                                      // 0000000045A8: BF0A4252
	s_cselect_b32 s20, s36, s60                                // 0000000045AC: 85143C24
	v_readlane_b32 s82, v3, 1                                  // 0000000045B0: D2890052 00010303
	s_and_b32 s82, s82, 0xffffff                               // 0000000045B8: 8652FF52 00FFFFFF
	s_cmp_lt_u32 s82, s66                                      // 0000000045C0: BF0A4252
	s_cselect_b32 s21, s36, s60                                // 0000000045C4: 85153C24
	s_mov_b64 exec, s[20:21]                                   // 0000000045C8: BEFE0114
	global_atomic_add_f32 v6, v56, s[8:9]                      // 0000000045CC: DD348000 00083806
	global_atomic_add_f32 v6, v60, s[8:9] offset:256           // 0000000045D4: DD348100 00083C06
	global_atomic_add_f32 v6, v64, s[8:9] offset:512           // 0000000045DC: DD348200 00084006
	global_atomic_add_f32 v6, v68, s[8:9] offset:768           // 0000000045E4: DD348300 00084406
	s_mov_b64 exec, s[36:37]                                   // 0000000045EC: BEFE0124
	v_mov_b32_e32 v6, v33                                      // 0000000045F0: 7E0C0321
	s_mov_b64 s[60:61], 0                                      // 0000000045F4: BEBC0180
	v_readlane_b32 s82, v3, 2                                  // 0000000045F8: D2890052 00010503
	s_and_b32 s82, s82, 0xffffff                               // 000000004600: 8652FF52 00FFFFFF
	s_cmp_lt_u32 s82, s66                                      // 000000004608: BF0A4252
	s_cselect_b32 s20, s36, s60                                // 00000000460C: 85143C24
	v_readlane_b32 s82, v3, 3                                  // 000000004610: D2890052 00010703
	s_and_b32 s82, s82, 0xffffff                               // 000000004618: 8652FF52 00FFFFFF
	s_cmp_lt_u32 s82, s66                                      // 000000004620: BF0A4252
	s_cselect_b32 s21, s36, s60                                // 000000004624: 85153C24
	s_mov_b64 exec, s[20:21]                                   // 000000004628: BEFE0114
	global_atomic_add_f32 v6, v57, s[8:9]                      // 00000000462C: DD348000 00083906
	global_atomic_add_f32 v6, v61, s[8:9] offset:256           // 000000004634: DD348100 00083D06
	global_atomic_add_f32 v6, v65, s[8:9] offset:512           // 00000000463C: DD348200 00084106
	global_atomic_add_f32 v6, v69, s[8:9] offset:768           // 000000004644: DD348300 00084506
	s_mov_b64 exec, s[36:37]                                   // 00000000464C: BEFE0124
	ds_write_b64 v20, v[58:59]                                 // 000000004650: D89A0000 00003A14
	ds_write_b64 v20, v[62:63] offset:2176                     // 000000004658: D89A0880 00003E14
	ds_write_b64 v20, v[66:67] offset:4352                     // 000000004660: D89A1100 00004214
	ds_write_b64 v20, v[70:71] offset:6528                     // 000000004668: D89A1980 00004614
	s_waitcnt lgkmcnt(0)                                       // 000000004670: BF8CC07F
	s_barrier                                                  // 000000004674: BF8A0000
	ds_read_b32 v58, v21                                       // 000000004678: D86C0000 3A000015
	ds_read_b32 v59, v21 offset:64                             // 000000004680: D86C0040 3B000015
	ds_read_b32 v62, v21 offset:2176                           // 000000004688: D86C0880 3E000015
	ds_read_b32 v63, v21 offset:2240                           // 000000004690: D86C08C0 3F000015
	ds_read_b32 v66, v21 offset:4352                           // 000000004698: D86C1100 42000015
	ds_read_b32 v67, v21 offset:4416                           // 0000000046A0: D86C1140 43000015
	ds_read_b32 v70, v21 offset:6528                           // 0000000046A8: D86C1980 46000015
	ds_read_b32 v71, v21 offset:6592                           // 0000000046B0: D86C19C0 47000015
	s_waitcnt lgkmcnt(0)                                       // 0000000046B8: BF8CC07F
	v_mov_b32_e32 v7, 0                                        // 0000000046BC: 7E0E0280
	s_mov_b64 exec, s[36:37]                                   // 0000000046C0: BEFE0124
	v_mov_b32_e32 v6, v32                                      // 0000000046C4: 7E0C0320
	s_mov_b64 s[60:61], 0                                      // 0000000046C8: BEBC0180
	v_readlane_b32 s82, v3, 0                                  // 0000000046CC: D2890052 00010103
	s_and_b32 s82, s82, 0xffffff                               // 0000000046D4: 8652FF52 00FFFFFF
	s_cmp_lt_u32 s82, s66                                      // 0000000046DC: BF0A4252
	s_cselect_b32 s20, s36, s60                                // 0000000046E0: 85143C24
	v_readlane_b32 s82, v3, 1                                  // 0000000046E4: D2890052 00010303
	s_and_b32 s82, s82, 0xffffff                               // 0000000046EC: 8652FF52 00FFFFFF
	s_cmp_lt_u32 s82, s66                                      // 0000000046F4: BF0A4252
	s_cselect_b32 s21, s36, s60                                // 0000000046F8: 85153C24
	s_mov_b64 exec, s[20:21]                                   // 0000000046FC: BEFE0114
	global_atomic_add_f32 v6, v58, s[8:9] offset:8             // 000000004700: DD348008 00083A06
	global_atomic_add_f32 v6, v62, s[8:9] offset:264           // 000000004708: DD348108 00083E06
	global_atomic_add_f32 v6, v66, s[8:9] offset:520           // 000000004710: DD348208 00084206
	global_atomic_add_f32 v6, v70, s[8:9] offset:776           // 000000004718: DD348308 00084606
	s_mov_b64 exec, s[36:37]                                   // 000000004720: BEFE0124
	v_mov_b32_e32 v6, v33                                      // 000000004724: 7E0C0321
	s_mov_b64 s[60:61], 0                                      // 000000004728: BEBC0180
	v_readlane_b32 s82, v3, 2                                  // 00000000472C: D2890052 00010503
	s_and_b32 s82, s82, 0xffffff                               // 000000004734: 8652FF52 00FFFFFF
	s_cmp_lt_u32 s82, s66                                      // 00000000473C: BF0A4252
	s_cselect_b32 s20, s36, s60                                // 000000004740: 85143C24
	v_readlane_b32 s82, v3, 3                                  // 000000004744: D2890052 00010703
	s_and_b32 s82, s82, 0xffffff                               // 00000000474C: 8652FF52 00FFFFFF
	s_cmp_lt_u32 s82, s66                                      // 000000004754: BF0A4252
	s_cselect_b32 s21, s36, s60                                // 000000004758: 85153C24
	s_mov_b64 exec, s[20:21]                                   // 00000000475C: BEFE0114
	global_atomic_add_f32 v6, v59, s[8:9] offset:8             // 000000004760: DD348008 00083B06
	global_atomic_add_f32 v6, v63, s[8:9] offset:264           // 000000004768: DD348108 00083F06
	global_atomic_add_f32 v6, v67, s[8:9] offset:520           // 000000004770: DD348208 00084306
	global_atomic_add_f32 v6, v71, s[8:9] offset:776           // 000000004778: DD348308 00084706
	s_mov_b64 exec, s[36:37]                                   // 000000004780: BEFE0124
	s_branch label_0D29                                        // 000000004784: BF8205C4

0000000000004788 <label_0765>:
	s_waitcnt vmcnt(6) lgkmcnt(0)                              // 000000004788: BF8C0076
	s_barrier                                                  // 00000000478C: BF8A0000
	v_mov_b32_e32 v31, v29                                     // 000000004790: 7E3E031D
	v_mul_f32_dpp v4, v24, v31 row_newbcast:0 row_mask:0xf bank_mask:0xf// 000000004794: 0A083EFA FF015018
	v_mfma_f32_16x16x32_fp8_fp8 v[8:11], a[16:17], a[0:1], 0   // 00000000479C: D3F30008 1A020110
	buffer_load_dword v27, v23, s[32:35], 0 offen              // 0000000047A4: E0501000 80081B17
	buffer_load_dwordx4 a[48:51], v34, s[84:87], 0 offen       // 0000000047AC: E05C1000 80953022
	v_mfma_f32_16x16x32_fp8_fp8 v[8:11], a[18:19], a[2:3], v[8:11]// 0000000047B4: D3F30008 1C220512
	v_mfma_f32_16x16x32_fp8_fp8 v[8:11], a[20:21], a[4:5], v[8:11]// 0000000047BC: D3F30008 1C220914
	v_mfma_f32_16x16x32_fp8_fp8 v[8:11], a[22:23], a[6:7], v[8:11]// 0000000047C4: D3F30008 1C220D16
	s_waitcnt vmcnt(6)                                         // 0000000047CC: BF8C0F76
	v_mul_f32_dpp v6, v24, v31 row_newbcast:0 row_mask:0xf bank_mask:0xf// 0000000047D0: 0A0C3EFA FF015018
	v_mfma_f32_16x16x32_fp8_fp8 v[12:15], a[24:25], a[0:1], 0  // 0000000047D8: D3F3000C 1A020118
	buffer_load_dwordx4 a[52:55], v34, s[84:87], 0 offen offset:1024// 0000000047E0: E05C1400 80953422
	v_mfma_f32_16x16x32_fp8_fp8 v[12:15], a[26:27], a[2:3], v[12:15]// 0000000047E8: D3F3000C 1C32051A
	v_mfma_f32_16x16x32_fp8_fp8 v[12:15], a[28:29], a[4:5], v[12:15]// 0000000047F0: D3F3000C 1C32091C
	v_mfma_f32_16x16x32_fp8_fp8 v[12:15], a[30:31], a[6:7], v[12:15]// 0000000047F8: D3F3000C 1C320D1E
	v_fma_f32 v40, v8, v4, v40                                 // 000000004800: D1CB0028 04A20908
	v_fma_f32 v41, v9, v4, v41                                 // 000000004808: D1CB0029 04A60909
	v_fma_f32 v42, v10, v4, v42                                // 000000004810: D1CB002A 04AA090A
	v_fma_f32 v43, v11, v4, v43                                // 000000004818: D1CB002B 04AE090B
	s_waitcnt vmcnt(5)                                         // 000000004820: BF8C0F75
	v_mul_f32_dpp v4, v24, v31 row_newbcast:1 row_mask:0xf bank_mask:0xf// 000000004824: 0A083EFA FF015118
	v_mfma_f32_16x16x32_fp8_fp8 v[8:11], a[32:33], a[0:1], 0   // 00000000482C: D3F30008 1A020120
	buffer_load_dwordx4 a[56:59], v35, s[84:87], 0 offen       // 000000004834: E05C1000 80953823
	v_mfma_f32_16x16x32_fp8_fp8 v[8:11], a[34:35], a[2:3], v[8:11]// 00000000483C: D3F30008 1C220522
	v_mfma_f32_16x16x32_fp8_fp8 v[8:11], a[36:37], a[4:5], v[8:11]// 000000004844: D3F30008 1C220924
	v_mfma_f32_16x16x32_fp8_fp8 v[8:11], a[38:39], a[6:7], v[8:11]// 00000000484C: D3F30008 1C220D26
	v_fma_f32 v44, v12, v6, v44                                // 000000004854: D1CB002C 04B20D0C
	v_fma_f32 v45, v13, v6, v45                                // 00000000485C: D1CB002D 04B60D0D
	v_fma_f32 v46, v14, v6, v46                                // 000000004864: D1CB002E 04BA0D0E
	v_fma_f32 v47, v15, v6, v47                                // 00000000486C: D1CB002F 04BE0D0F
	s_waitcnt vmcnt(4)                                         // 000000004874: BF8C0F74
	v_mul_f32_dpp v6, v24, v31 row_newbcast:1 row_mask:0xf bank_mask:0xf// 000000004878: 0A0C3EFA FF015118
	v_mfma_f32_16x16x32_fp8_fp8 v[12:15], a[40:41], a[0:1], 0  // 000000004880: D3F3000C 1A020128
	buffer_load_dwordx4 a[60:63], v35, s[84:87], 0 offen offset:1024// 000000004888: E05C1400 80953C23
	v_mfma_f32_16x16x32_fp8_fp8 v[12:15], a[42:43], a[2:3], v[12:15]// 000000004890: D3F3000C 1C32052A
	s_add_u32 s60, 0x80, s80                                   // 000000004898: 803C50FF 00000080
	s_cmp_lt_u32 s60, s81                                      // 0000000048A0: BF0A513C
	s_cselect_b32 s83, s83, 0                                  // 0000000048A4: 85538053
	s_cselect_b32 s4, s4, 0                                    // 0000000048A8: 85048004
	v_mfma_f32_16x16x32_fp8_fp8 v[12:15], a[44:45], a[4:5], v[12:15]// 0000000048AC: D3F3000C 1C32092C
	s_add_u32 s32, s4, s32                                     // 0000000048B4: 80202004
	s_addc_u32 s33, 0, s33                                     // 0000000048B8: 82212180
	v_mfma_f32_16x16x32_fp8_fp8 v[12:15], a[46:47], a[6:7], v[12:15]// 0000000048BC: D3F3000C 1C320D2E
	v_fma_f32 v48, v8, v4, v48                                 // 0000000048C4: D1CB0030 04C20908
	v_fma_f32 v49, v9, v4, v49                                 // 0000000048CC: D1CB0031 04C60909
	v_fma_f32 v50, v10, v4, v50                                // 0000000048D4: D1CB0032 04CA090A
	v_fma_f32 v51, v11, v4, v51                                // 0000000048DC: D1CB0033 04CE090B
	v_fma_f32 v52, v12, v6, v52                                // 0000000048E4: D1CB0034 04D20D0C
	v_fma_f32 v53, v13, v6, v53                                // 0000000048EC: D1CB0035 04D60D0D
	v_fma_f32 v54, v14, v6, v54                                // 0000000048F4: D1CB0036 04DA0D0E
	v_fma_f32 v55, v15, v6, v55                                // 0000000048FC: D1CB0037 04DE0D0F
	buffer_load_dwordx4 a[64:67], v36, s[84:87], 0 offen       // 000000004904: E05C1000 80954024
	buffer_load_dwordx4 a[68:71], v36, s[84:87], 0 offen offset:1024// 00000000490C: E05C1400 80954424
	buffer_load_dwordx4 a[72:75], v37, s[84:87], 0 offen       // 000000004914: E05C1000 80954825
	buffer_load_dwordx4 a[76:79], v37, s[84:87], 0 offen offset:1024// 00000000491C: E05C1400 80954C25
	buffer_load_dword v32, s[20:23], 0 offen lds               // 000000004924: E0511000 80050020
	s_add_u32 m0, 0x100, s48                                   // 00000000492C: 807C30FF 00000100
	buffer_load_dword v33, s[20:23], 0 offen lds               // 000000004934: E0511000 80050021
	s_add_u32 m0, 0, s49                                       // 00000000493C: 807C3180
	buffer_load_dword v29, v28, s[28:31], 0 offen              // 000000004940: E0501000 80071D1C
	s_waitcnt vmcnt(3)                                         // 000000004948: BF8C0F73
	v_mul_f32_dpp v4, v27, v31 row_newbcast:0 row_mask:0xf bank_mask:0xf// 00000000494C: 0A083EFA FF01501B
	v_mfma_f32_16x16x32_fp8_fp8 v[8:11], a[48:49], a[0:1], 0   // 000000004954: D3F30008 1A020130
	buffer_load_dword v24, v22, s[32:35], 0 offen              // 00000000495C: E0501000 80081816
	buffer_load_dwordx4 a[16:19], v34, s[24:27], 0 offen       // 000000004964: E05C1000 80861022
	v_mfma_f32_16x16x32_fp8_fp8 v[8:11], a[50:51], a[2:3], v[8:11]// 00000000496C: D3F30008 1C220532
	v_mfma_f32_16x16x32_fp8_fp8 v[8:11], a[52:53], a[4:5], v[8:11]// 000000004974: D3F30008 1C220934
	ds_read_b128 a[8:11], v2 offset:2176                       // 00000000497C: DBFE0880 08000002
	ds_read_b128 a[12:15], v2 offset:2240                      // 000000004984: DBFE08C0 0C000002
	v_mfma_f32_16x16x32_fp8_fp8 v[8:11], a[54:55], a[6:7], v[8:11]// 00000000498C: D3F30008 1C220D36
	v_mfma_f32_16x16x32_fp8_fp8 v[12:15], a[56:57], a[0:1], 0  // 000000004994: D3F3000C 1A020138
	buffer_load_dwordx4 a[20:23], v34, s[24:27], 0 offen offset:1024// 00000000499C: E05C1400 80861422
	v_mfma_f32_16x16x32_fp8_fp8 v[12:15], a[58:59], a[2:3], v[12:15]// 0000000049A4: D3F3000C 1C32053A
	v_mfma_f32_16x16x32_fp8_fp8 v[12:15], a[60:61], a[4:5], v[12:15]// 0000000049AC: D3F3000C 1C32093C
	v_mfma_f32_16x16x32_fp8_fp8 v[12:15], a[62:63], a[6:7], v[12:15]// 0000000049B4: D3F3000C 1C320D3E
	v_fma_f32 v56, v8, v4, v56                                 // 0000000049BC: D1CB0038 04E20908
	v_fma_f32 v57, v9, v4, v57                                 // 0000000049C4: D1CB0039 04E60909
	v_fma_f32 v58, v10, v4, v58                                // 0000000049CC: D1CB003A 04EA090A
	v_fma_f32 v59, v11, v4, v59                                // 0000000049D4: D1CB003B 04EE090B
	v_mul_f32_dpp v6, v27, v31 row_newbcast:1 row_mask:0xf bank_mask:0xf// 0000000049DC: 0A0C3EFA FF01511B
	v_mfma_f32_16x16x32_fp8_fp8 v[8:11], a[64:65], a[0:1], 0   // 0000000049E4: D3F30008 1A020140
	buffer_load_dwordx4 a[24:27], v35, s[24:27], 0 offen       // 0000000049EC: E05C1000 80861823
	v_mfma_f32_16x16x32_fp8_fp8 v[8:11], a[66:67], a[2:3], v[8:11]// 0000000049F4: D3F30008 1C220542
	v_mfma_f32_16x16x32_fp8_fp8 v[8:11], a[68:69], a[4:5], v[8:11]// 0000000049FC: D3F30008 1C220944
	s_add_u32 s60, 0x180, s80                                  // 000000004A04: 803C50FF 00000180
	s_cmp_lt_u32 s60, s81                                      // 000000004A0C: BF0A513C
	s_cselect_b32 s57, s57, 0                                  // 000000004A10: 85398039
	s_cselect_b32 s3, s3, 0                                    // 000000004A14: 85038003
	v_mfma_f32_16x16x32_fp8_fp8 v[8:11], a[70:71], a[6:7], v[8:11]// 000000004A18: D3F30008 1C220D46
	s_add_u32 s60, 0x100, s80                                  // 000000004A20: 803C50FF 00000100
	s_cmp_lt_u32 s60, s81                                      // 000000004A28: BF0A513C
	s_cselect_b32 s58, s58, 0                                  // 000000004A2C: 853A803A
	v_fma_f32 v60, v12, v4, v60                                // 000000004A30: D1CB003C 04F2090C
	v_fma_f32 v61, v13, v4, v61                                // 000000004A38: D1CB003D 04F6090D
	v_fma_f32 v62, v14, v4, v62                                // 000000004A40: D1CB003E 04FA090E
	v_fma_f32 v63, v15, v4, v63                                // 000000004A48: D1CB003F 04FE090F
	v_mfma_f32_16x16x32_fp8_fp8 v[12:15], a[72:73], a[0:1], 0  // 000000004A50: D3F3000C 1A020148
	buffer_load_dwordx4 a[28:31], v35, s[24:27], 0 offen offset:1024// 000000004A58: E05C1400 80861C23
	v_mfma_f32_16x16x32_fp8_fp8 v[12:15], a[74:75], a[2:3], v[12:15]// 000000004A60: D3F3000C 1C32054A
	s_add_u32 s20, s57, s20                                    // 000000004A68: 80141439
	s_addc_u32 s21, 0, s21                                     // 000000004A6C: 82151580
	s_add_u32 s28, s3, s28                                     // 000000004A70: 801C1C03
	s_addc_u32 s29, 0, s29                                     // 000000004A74: 821D1D80
	v_mfma_f32_16x16x32_fp8_fp8 v[12:15], a[76:77], a[4:5], v[12:15]// 000000004A78: D3F3000C 1C32094C
	s_add_u32 s84, s83, s84                                    // 000000004A80: 80545453
	s_addc_u32 s85, 0, s85                                     // 000000004A84: 82555580
	v_mfma_f32_16x16x32_fp8_fp8 v[12:15], a[78:79], a[6:7], v[12:15]// 000000004A88: D3F3000C 1C320D4E
	v_fma_f32 v64, v8, v6, v64                                 // 000000004A90: D1CB0040 05020D08
	v_fma_f32 v65, v9, v6, v65                                 // 000000004A98: D1CB0041 05060D09
	v_fma_f32 v66, v10, v6, v66                                // 000000004AA0: D1CB0042 050A0D0A
	v_fma_f32 v67, v11, v6, v67                                // 000000004AA8: D1CB0043 050E0D0B
	v_fma_f32 v68, v12, v6, v68                                // 000000004AB0: D1CB0044 05120D0C
	v_fma_f32 v69, v13, v6, v69                                // 000000004AB8: D1CB0045 05160D0D
	v_fma_f32 v70, v14, v6, v70                                // 000000004AC0: D1CB0046 051A0D0E
	v_fma_f32 v71, v15, v6, v71                                // 000000004AC8: D1CB0047 051E0D0F
	buffer_load_dwordx4 a[32:35], v36, s[24:27], 0 offen       // 000000004AD0: E05C1000 80862024
	buffer_load_dwordx4 a[36:39], v36, s[24:27], 0 offen offset:1024// 000000004AD8: E05C1400 80862424
	buffer_load_dwordx4 a[40:43], v37, s[24:27], 0 offen       // 000000004AE0: E05C1000 80862825
	buffer_load_dwordx4 a[44:47], v37, s[24:27], 0 offen offset:1024// 000000004AE8: E05C1400 80862C25
	s_add_u32 s24, s58, s24                                    // 000000004AF0: 8018183A
	s_addc_u32 s25, 0, s25                                     // 000000004AF4: 82191980
	s_addk_i32 s80, 0x80                                       // 000000004AF8: B7500080
	s_cmp_lt_i32 s80, s81                                      // 000000004AFC: BF045150
	s_cbranch_scc0 label_0924                                  // 000000004B00: BF8400E0
	s_waitcnt vmcnt(6) lgkmcnt(0)                              // 000000004B04: BF8C0076
	s_barrier                                                  // 000000004B08: BF8A0000
	v_mov_b32_e32 v31, v30                                     // 000000004B0C: 7E3E031E
	v_mul_f32_dpp v4, v24, v31 row_newbcast:0 row_mask:0xf bank_mask:0xf// 000000004B10: 0A083EFA FF015018
	v_mfma_f32_16x16x32_fp8_fp8 v[8:11], a[16:17], a[8:9], 0   // 000000004B18: D3F30008 1A021110
	buffer_load_dword v27, v23, s[32:35], 0 offen              // 000000004B20: E0501000 80081B17
	buffer_load_dwordx4 a[48:51], v34, s[84:87], 0 offen       // 000000004B28: E05C1000 80953022
	v_mfma_f32_16x16x32_fp8_fp8 v[8:11], a[18:19], a[10:11], v[8:11]// 000000004B30: D3F30008 1C221512
	v_mfma_f32_16x16x32_fp8_fp8 v[8:11], a[20:21], a[12:13], v[8:11]// 000000004B38: D3F30008 1C221914
	v_mfma_f32_16x16x32_fp8_fp8 v[8:11], a[22:23], a[14:15], v[8:11]// 000000004B40: D3F30008 1C221D16
	s_waitcnt vmcnt(6)                                         // 000000004B48: BF8C0F76
	v_mul_f32_dpp v6, v24, v31 row_newbcast:0 row_mask:0xf bank_mask:0xf// 000000004B4C: 0A0C3EFA FF015018
	v_mfma_f32_16x16x32_fp8_fp8 v[12:15], a[24:25], a[8:9], 0  // 000000004B54: D3F3000C 1A021118
	buffer_load_dwordx4 a[52:55], v34, s[84:87], 0 offen offset:1024// 000000004B5C: E05C1400 80953422
	v_mfma_f32_16x16x32_fp8_fp8 v[12:15], a[26:27], a[10:11], v[12:15]// 000000004B64: D3F3000C 1C32151A
	v_mfma_f32_16x16x32_fp8_fp8 v[12:15], a[28:29], a[12:13], v[12:15]// 000000004B6C: D3F3000C 1C32191C
	v_mfma_f32_16x16x32_fp8_fp8 v[12:15], a[30:31], a[14:15], v[12:15]// 000000004B74: D3F3000C 1C321D1E
	v_fma_f32 v40, v8, v4, v40                                 // 000000004B7C: D1CB0028 04A20908
	v_fma_f32 v41, v9, v4, v41                                 // 000000004B84: D1CB0029 04A60909
	v_fma_f32 v42, v10, v4, v42                                // 000000004B8C: D1CB002A 04AA090A
	v_fma_f32 v43, v11, v4, v43                                // 000000004B94: D1CB002B 04AE090B
	s_waitcnt vmcnt(5)                                         // 000000004B9C: BF8C0F75
	v_mul_f32_dpp v4, v24, v31 row_newbcast:1 row_mask:0xf bank_mask:0xf// 000000004BA0: 0A083EFA FF015118
	v_mfma_f32_16x16x32_fp8_fp8 v[8:11], a[32:33], a[8:9], 0   // 000000004BA8: D3F30008 1A021120
	buffer_load_dwordx4 a[56:59], v35, s[84:87], 0 offen       // 000000004BB0: E05C1000 80953823
	v_mfma_f32_16x16x32_fp8_fp8 v[8:11], a[34:35], a[10:11], v[8:11]// 000000004BB8: D3F30008 1C221522
	v_mfma_f32_16x16x32_fp8_fp8 v[8:11], a[36:37], a[12:13], v[8:11]// 000000004BC0: D3F30008 1C221924
	v_mfma_f32_16x16x32_fp8_fp8 v[8:11], a[38:39], a[14:15], v[8:11]// 000000004BC8: D3F30008 1C221D26
	v_fma_f32 v44, v12, v6, v44                                // 000000004BD0: D1CB002C 04B20D0C
	v_fma_f32 v45, v13, v6, v45                                // 000000004BD8: D1CB002D 04B60D0D
	v_fma_f32 v46, v14, v6, v46                                // 000000004BE0: D1CB002E 04BA0D0E
	v_fma_f32 v47, v15, v6, v47                                // 000000004BE8: D1CB002F 04BE0D0F
	s_waitcnt vmcnt(4)                                         // 000000004BF0: BF8C0F74
	v_mul_f32_dpp v6, v24, v31 row_newbcast:1 row_mask:0xf bank_mask:0xf// 000000004BF4: 0A0C3EFA FF015118
	v_mfma_f32_16x16x32_fp8_fp8 v[12:15], a[40:41], a[8:9], 0  // 000000004BFC: D3F3000C 1A021128
	buffer_load_dwordx4 a[60:63], v35, s[84:87], 0 offen offset:1024// 000000004C04: E05C1400 80953C23
	v_mfma_f32_16x16x32_fp8_fp8 v[12:15], a[42:43], a[10:11], v[12:15]// 000000004C0C: D3F3000C 1C32152A
	s_add_u32 s60, 0x80, s80                                   // 000000004C14: 803C50FF 00000080
	s_cmp_lt_u32 s60, s81                                      // 000000004C1C: BF0A513C
	s_cselect_b32 s83, s83, 0                                  // 000000004C20: 85538053
	s_cselect_b32 s4, s4, 0                                    // 000000004C24: 85048004
	v_mfma_f32_16x16x32_fp8_fp8 v[12:15], a[44:45], a[12:13], v[12:15]// 000000004C28: D3F3000C 1C32192C
	s_add_u32 s32, s4, s32                                     // 000000004C30: 80202004
	s_addc_u32 s33, 0, s33                                     // 000000004C34: 82212180
	v_mfma_f32_16x16x32_fp8_fp8 v[12:15], a[46:47], a[14:15], v[12:15]// 000000004C38: D3F3000C 1C321D2E
	v_fma_f32 v48, v8, v4, v48                                 // 000000004C40: D1CB0030 04C20908
	v_fma_f32 v49, v9, v4, v49                                 // 000000004C48: D1CB0031 04C60909
	v_fma_f32 v50, v10, v4, v50                                // 000000004C50: D1CB0032 04CA090A
	v_fma_f32 v51, v11, v4, v51                                // 000000004C58: D1CB0033 04CE090B
	v_fma_f32 v52, v12, v6, v52                                // 000000004C60: D1CB0034 04D20D0C
	v_fma_f32 v53, v13, v6, v53                                // 000000004C68: D1CB0035 04D60D0D
	v_fma_f32 v54, v14, v6, v54                                // 000000004C70: D1CB0036 04DA0D0E
	v_fma_f32 v55, v15, v6, v55                                // 000000004C78: D1CB0037 04DE0D0F
	buffer_load_dwordx4 a[64:67], v36, s[84:87], 0 offen       // 000000004C80: E05C1000 80954024
	buffer_load_dwordx4 a[68:71], v36, s[84:87], 0 offen offset:1024// 000000004C88: E05C1400 80954424
	buffer_load_dwordx4 a[72:75], v37, s[84:87], 0 offen       // 000000004C90: E05C1000 80954825
	buffer_load_dwordx4 a[76:79], v37, s[84:87], 0 offen offset:1024// 000000004C98: E05C1400 80954C25
	buffer_load_dword v32, s[20:23], 0 offen lds               // 000000004CA0: E0511000 80050020
	s_add_u32 m0, 0x100, s49                                   // 000000004CA8: 807C31FF 00000100
	buffer_load_dword v33, s[20:23], 0 offen lds               // 000000004CB0: E0511000 80050021
	s_add_u32 m0, 0, s48                                       // 000000004CB8: 807C3080
	buffer_load_dword v30, v28, s[28:31], 0 offen              // 000000004CBC: E0501000 80071E1C
	s_waitcnt vmcnt(3)                                         // 000000004CC4: BF8C0F73
	v_mul_f32_dpp v4, v27, v31 row_newbcast:0 row_mask:0xf bank_mask:0xf// 000000004CC8: 0A083EFA FF01501B
	v_mfma_f32_16x16x32_fp8_fp8 v[8:11], a[48:49], a[8:9], 0   // 000000004CD0: D3F30008 1A021130
	buffer_load_dword v24, v22, s[32:35], 0 offen              // 000000004CD8: E0501000 80081816
	buffer_load_dwordx4 a[16:19], v34, s[24:27], 0 offen       // 000000004CE0: E05C1000 80861022
	v_mfma_f32_16x16x32_fp8_fp8 v[8:11], a[50:51], a[10:11], v[8:11]// 000000004CE8: D3F30008 1C221532
	v_mfma_f32_16x16x32_fp8_fp8 v[8:11], a[52:53], a[12:13], v[8:11]// 000000004CF0: D3F30008 1C221934
	ds_read_b128 a[0:3], v2                                    // 000000004CF8: DBFE0000 00000002
	ds_read_b128 a[4:7], v2 offset:64                          // 000000004D00: DBFE0040 04000002
	v_mfma_f32_16x16x32_fp8_fp8 v[8:11], a[54:55], a[14:15], v[8:11]// 000000004D08: D3F30008 1C221D36
	v_mfma_f32_16x16x32_fp8_fp8 v[12:15], a[56:57], a[8:9], 0  // 000000004D10: D3F3000C 1A021138
	buffer_load_dwordx4 a[20:23], v34, s[24:27], 0 offen offset:1024// 000000004D18: E05C1400 80861422
	v_mfma_f32_16x16x32_fp8_fp8 v[12:15], a[58:59], a[10:11], v[12:15]// 000000004D20: D3F3000C 1C32153A
	v_mfma_f32_16x16x32_fp8_fp8 v[12:15], a[60:61], a[12:13], v[12:15]// 000000004D28: D3F3000C 1C32193C
	v_mfma_f32_16x16x32_fp8_fp8 v[12:15], a[62:63], a[14:15], v[12:15]// 000000004D30: D3F3000C 1C321D3E
	v_fma_f32 v56, v8, v4, v56                                 // 000000004D38: D1CB0038 04E20908
	v_fma_f32 v57, v9, v4, v57                                 // 000000004D40: D1CB0039 04E60909
	v_fma_f32 v58, v10, v4, v58                                // 000000004D48: D1CB003A 04EA090A
	v_fma_f32 v59, v11, v4, v59                                // 000000004D50: D1CB003B 04EE090B
	v_mul_f32_dpp v6, v27, v31 row_newbcast:1 row_mask:0xf bank_mask:0xf// 000000004D58: 0A0C3EFA FF01511B
	v_mfma_f32_16x16x32_fp8_fp8 v[8:11], a[64:65], a[8:9], 0   // 000000004D60: D3F30008 1A021140
	buffer_load_dwordx4 a[24:27], v35, s[24:27], 0 offen       // 000000004D68: E05C1000 80861823
	v_mfma_f32_16x16x32_fp8_fp8 v[8:11], a[66:67], a[10:11], v[8:11]// 000000004D70: D3F30008 1C221542
	v_mfma_f32_16x16x32_fp8_fp8 v[8:11], a[68:69], a[12:13], v[8:11]// 000000004D78: D3F30008 1C221944
	s_add_u32 s60, 0x180, s80                                  // 000000004D80: 803C50FF 00000180
	s_cmp_lt_u32 s60, s81                                      // 000000004D88: BF0A513C
	s_cselect_b32 s57, s57, 0                                  // 000000004D8C: 85398039
	s_cselect_b32 s3, s3, 0                                    // 000000004D90: 85038003
	v_mfma_f32_16x16x32_fp8_fp8 v[8:11], a[70:71], a[14:15], v[8:11]// 000000004D94: D3F30008 1C221D46
	s_add_u32 s60, 0x100, s80                                  // 000000004D9C: 803C50FF 00000100
	s_cmp_lt_u32 s60, s81                                      // 000000004DA4: BF0A513C
	s_cselect_b32 s58, s58, 0                                  // 000000004DA8: 853A803A
	v_fma_f32 v60, v12, v4, v60                                // 000000004DAC: D1CB003C 04F2090C
	v_fma_f32 v61, v13, v4, v61                                // 000000004DB4: D1CB003D 04F6090D
	v_fma_f32 v62, v14, v4, v62                                // 000000004DBC: D1CB003E 04FA090E
	v_fma_f32 v63, v15, v4, v63                                // 000000004DC4: D1CB003F 04FE090F
	v_mfma_f32_16x16x32_fp8_fp8 v[12:15], a[72:73], a[8:9], 0  // 000000004DCC: D3F3000C 1A021148
	buffer_load_dwordx4 a[28:31], v35, s[24:27], 0 offen offset:1024// 000000004DD4: E05C1400 80861C23
	v_mfma_f32_16x16x32_fp8_fp8 v[12:15], a[74:75], a[10:11], v[12:15]// 000000004DDC: D3F3000C 1C32154A
	s_add_u32 s20, s57, s20                                    // 000000004DE4: 80141439
	s_addc_u32 s21, 0, s21                                     // 000000004DE8: 82151580
	s_add_u32 s28, s3, s28                                     // 000000004DEC: 801C1C03
	s_addc_u32 s29, 0, s29                                     // 000000004DF0: 821D1D80
	v_mfma_f32_16x16x32_fp8_fp8 v[12:15], a[76:77], a[12:13], v[12:15]// 000000004DF4: D3F3000C 1C32194C
	s_add_u32 s84, s83, s84                                    // 000000004DFC: 80545453
	s_addc_u32 s85, 0, s85                                     // 000000004E00: 82555580
	v_mfma_f32_16x16x32_fp8_fp8 v[12:15], a[78:79], a[14:15], v[12:15]// 000000004E04: D3F3000C 1C321D4E
	v_fma_f32 v64, v8, v6, v64                                 // 000000004E0C: D1CB0040 05020D08
	v_fma_f32 v65, v9, v6, v65                                 // 000000004E14: D1CB0041 05060D09
	v_fma_f32 v66, v10, v6, v66                                // 000000004E1C: D1CB0042 050A0D0A
	v_fma_f32 v67, v11, v6, v67                                // 000000004E24: D1CB0043 050E0D0B
	v_fma_f32 v68, v12, v6, v68                                // 000000004E2C: D1CB0044 05120D0C
	v_fma_f32 v69, v13, v6, v69                                // 000000004E34: D1CB0045 05160D0D
	v_fma_f32 v70, v14, v6, v70                                // 000000004E3C: D1CB0046 051A0D0E
	v_fma_f32 v71, v15, v6, v71                                // 000000004E44: D1CB0047 051E0D0F
	buffer_load_dwordx4 a[32:35], v36, s[24:27], 0 offen       // 000000004E4C: E05C1000 80862024
	buffer_load_dwordx4 a[36:39], v36, s[24:27], 0 offen offset:1024// 000000004E54: E05C1400 80862424
	buffer_load_dwordx4 a[40:43], v37, s[24:27], 0 offen       // 000000004E5C: E05C1000 80862825
	buffer_load_dwordx4 a[44:47], v37, s[24:27], 0 offen offset:1024// 000000004E64: E05C1400 80862C25
	s_add_u32 s24, s58, s24                                    // 000000004E6C: 8018183A
	s_addc_u32 s25, 0, s25                                     // 000000004E70: 82191980
	s_addk_i32 s80, 0x80                                       // 000000004E74: B7500080
	s_cmp_lt_i32 s80, s81                                      // 000000004E78: BF045150
	s_cbranch_scc0 label_0924                                  // 000000004E7C: BF840001
	s_branch label_0765                                        // 000000004E80: BF82FE41

0000000000004e84 <label_0924>:
	s_cmp_eq_u32 s88, 0                                        // 000000004E84: BF068058
	s_cbranch_scc0 label_0BB3                                  // 000000004E88: BF84028D
	s_cmp_eq_u32 s89, 0                                        // 000000004E8C: BF068059
	s_cbranch_scc1 label_09CD                                  // 000000004E90: BF8500A5
	v_mov_b32_e32 v8, v1                                       // 000000004E94: 7E100301
	v_mov_b32_e32 v9, v1                                       // 000000004E98: 7E120301
	s_mov_b32 s60, s6                                          // 000000004E9C: BEBC0006
	s_mov_b32 s61, s6                                          // 000000004EA0: BEBD0006
	v_pk_mul_f32 v[4:5], v[40:41], v[40:41]                    // 000000004EA4: D3B14004 18025128
	v_pk_mul_f32 v[6:7], v[42:43], v[42:43]                    // 000000004EAC: D3B14006 1802552A
	v_pk_fma_f32 v[4:5], v[4:5], s[78:79], v[8:9]              // 000000004EB4: D3B04004 1C209D04
	v_pk_fma_f32 v[6:7], v[6:7], s[78:79], v[8:9]              // 000000004EBC: D3B04006 1C209D06
	v_pk_mul_f32 v[4:5], v[4:5], v[40:41]                      // 000000004EC4: D3B14004 18025104
	v_pk_mul_f32 v[6:7], v[6:7], v[42:43]                      // 000000004ECC: D3B14006 18025506
	v_pk_mul_f32 v[4:5], v[4:5], s[60:61]                      // 000000004ED4: D3B14004 18007904
	v_pk_mul_f32 v[6:7], v[6:7], s[60:61]                      // 000000004EDC: D3B14006 18007906
	v_exp_f32_e32 v4, v4                                       // 000000004EE4: 7E084104
	v_exp_f32_e32 v5, v5                                       // 000000004EE8: 7E0A4105
	v_exp_f32_e32 v6, v6                                       // 000000004EEC: 7E0C4106
	v_exp_f32_e32 v7, v7                                       // 000000004EF0: 7E0E4107
	v_add_f32_e64 v4, v4, 1.0                                  // 000000004EF4: D1010004 0001E504
	v_add_f32_e64 v5, v5, 1.0                                  // 000000004EFC: D1010005 0001E505
	v_add_f32_e64 v6, v6, 1.0                                  // 000000004F04: D1010006 0001E506
	v_add_f32_e64 v7, v7, 1.0                                  // 000000004F0C: D1010007 0001E507
	v_rcp_f32_e32 v4, v4                                       // 000000004F14: 7E084504
	v_rcp_f32_e32 v5, v5                                       // 000000004F18: 7E0A4505
	v_rcp_f32_e32 v6, v6                                       // 000000004F1C: 7E0C4506
	v_rcp_f32_e32 v7, v7                                       // 000000004F20: 7E0E4507
	v_mul_f32_e32 v40, v40, v4                                 // 000000004F24: 0A500928
	v_mul_f32_e32 v41, v41, v5                                 // 000000004F28: 0A520B29
	v_mul_f32_e32 v42, v42, v6                                 // 000000004F2C: 0A540D2A
	v_mul_f32_e32 v43, v43, v7                                 // 000000004F30: 0A560F2B
	v_mul_f32_e32 v40, v40, v56                                // 000000004F34: 0A507128
	v_mul_f32_e32 v41, v41, v57                                // 000000004F38: 0A527329
	v_mul_f32_e32 v42, v42, v58                                // 000000004F3C: 0A54752A
	v_mul_f32_e32 v43, v43, v59                                // 000000004F40: 0A56772B
	v_pk_mul_f32 v[4:5], v[44:45], v[44:45]                    // 000000004F44: D3B14004 1802592C
	v_pk_mul_f32 v[6:7], v[46:47], v[46:47]                    // 000000004F4C: D3B14006 18025D2E
	v_pk_fma_f32 v[4:5], v[4:5], s[78:79], v[8:9]              // 000000004F54: D3B04004 1C209D04
	v_pk_fma_f32 v[6:7], v[6:7], s[78:79], v[8:9]              // 000000004F5C: D3B04006 1C209D06
	v_pk_mul_f32 v[4:5], v[4:5], v[44:45]                      // 000000004F64: D3B14004 18025904
	v_pk_mul_f32 v[6:7], v[6:7], v[46:47]                      // 000000004F6C: D3B14006 18025D06
	v_pk_mul_f32 v[4:5], v[4:5], s[60:61]                      // 000000004F74: D3B14004 18007904
	v_pk_mul_f32 v[6:7], v[6:7], s[60:61]                      // 000000004F7C: D3B14006 18007906
	v_exp_f32_e32 v4, v4                                       // 000000004F84: 7E084104
	v_exp_f32_e32 v5, v5                                       // 000000004F88: 7E0A4105
	v_exp_f32_e32 v6, v6                                       // 000000004F8C: 7E0C4106
	v_exp_f32_e32 v7, v7                                       // 000000004F90: 7E0E4107
	v_add_f32_e64 v4, v4, 1.0                                  // 000000004F94: D1010004 0001E504
	v_add_f32_e64 v5, v5, 1.0                                  // 000000004F9C: D1010005 0001E505
	v_add_f32_e64 v6, v6, 1.0                                  // 000000004FA4: D1010006 0001E506
	v_add_f32_e64 v7, v7, 1.0                                  // 000000004FAC: D1010007 0001E507
	v_rcp_f32_e32 v4, v4                                       // 000000004FB4: 7E084504
	v_rcp_f32_e32 v5, v5                                       // 000000004FB8: 7E0A4505
	v_rcp_f32_e32 v6, v6                                       // 000000004FBC: 7E0C4506
	v_rcp_f32_e32 v7, v7                                       // 000000004FC0: 7E0E4507
	v_mul_f32_e32 v44, v44, v4                                 // 000000004FC4: 0A58092C
	v_mul_f32_e32 v45, v45, v5                                 // 000000004FC8: 0A5A0B2D
	v_mul_f32_e32 v46, v46, v6                                 // 000000004FCC: 0A5C0D2E
	v_mul_f32_e32 v47, v47, v7                                 // 000000004FD0: 0A5E0F2F
	v_mul_f32_e32 v44, v44, v60                                // 000000004FD4: 0A58792C
	v_mul_f32_e32 v45, v45, v61                                // 000000004FD8: 0A5A7B2D
	v_mul_f32_e32 v46, v46, v62                                // 000000004FDC: 0A5C7D2E
	v_mul_f32_e32 v47, v47, v63                                // 000000004FE0: 0A5E7F2F
	v_pk_mul_f32 v[4:5], v[48:49], v[48:49]                    // 000000004FE4: D3B14004 18026130
	v_pk_mul_f32 v[6:7], v[50:51], v[50:51]                    // 000000004FEC: D3B14006 18026532
	v_pk_fma_f32 v[4:5], v[4:5], s[78:79], v[8:9]              // 000000004FF4: D3B04004 1C209D04
	v_pk_fma_f32 v[6:7], v[6:7], s[78:79], v[8:9]              // 000000004FFC: D3B04006 1C209D06
	v_pk_mul_f32 v[4:5], v[4:5], v[48:49]                      // 000000005004: D3B14004 18026104
	v_pk_mul_f32 v[6:7], v[6:7], v[50:51]                      // 00000000500C: D3B14006 18026506
	v_pk_mul_f32 v[4:5], v[4:5], s[60:61]                      // 000000005014: D3B14004 18007904
	v_pk_mul_f32 v[6:7], v[6:7], s[60:61]                      // 00000000501C: D3B14006 18007906
	v_exp_f32_e32 v4, v4                                       // 000000005024: 7E084104
	v_exp_f32_e32 v5, v5                                       // 000000005028: 7E0A4105
	v_exp_f32_e32 v6, v6                                       // 00000000502C: 7E0C4106
	v_exp_f32_e32 v7, v7                                       // 000000005030: 7E0E4107
	v_add_f32_e64 v4, v4, 1.0                                  // 000000005034: D1010004 0001E504
	v_add_f32_e64 v5, v5, 1.0                                  // 00000000503C: D1010005 0001E505
	v_add_f32_e64 v6, v6, 1.0                                  // 000000005044: D1010006 0001E506
	v_add_f32_e64 v7, v7, 1.0                                  // 00000000504C: D1010007 0001E507
	v_rcp_f32_e32 v4, v4                                       // 000000005054: 7E084504
	v_rcp_f32_e32 v5, v5                                       // 000000005058: 7E0A4505
	v_rcp_f32_e32 v6, v6                                       // 00000000505C: 7E0C4506
	v_rcp_f32_e32 v7, v7                                       // 000000005060: 7E0E4507
	v_mul_f32_e32 v48, v48, v4                                 // 000000005064: 0A600930
	v_mul_f32_e32 v49, v49, v5                                 // 000000005068: 0A620B31
	v_mul_f32_e32 v50, v50, v6                                 // 00000000506C: 0A640D32
	v_mul_f32_e32 v51, v51, v7                                 // 000000005070: 0A660F33
	v_mul_f32_e32 v48, v48, v64                                // 000000005074: 0A608130
	v_mul_f32_e32 v49, v49, v65                                // 000000005078: 0A628331
	v_mul_f32_e32 v50, v50, v66                                // 00000000507C: 0A648532
	v_mul_f32_e32 v51, v51, v67                                // 000000005080: 0A668733
	v_pk_mul_f32 v[4:5], v[52:53], v[52:53]                    // 000000005084: D3B14004 18026934
	v_pk_mul_f32 v[6:7], v[54:55], v[54:55]                    // 00000000508C: D3B14006 18026D36
	v_pk_fma_f32 v[4:5], v[4:5], s[78:79], v[8:9]              // 000000005094: D3B04004 1C209D04
	v_pk_fma_f32 v[6:7], v[6:7], s[78:79], v[8:9]              // 00000000509C: D3B04006 1C209D06
	v_pk_mul_f32 v[4:5], v[4:5], v[52:53]                      // 0000000050A4: D3B14004 18026904
	v_pk_mul_f32 v[6:7], v[6:7], v[54:55]                      // 0000000050AC: D3B14006 18026D06
	v_pk_mul_f32 v[4:5], v[4:5], s[60:61]                      // 0000000050B4: D3B14004 18007904
	v_pk_mul_f32 v[6:7], v[6:7], s[60:61]                      // 0000000050BC: D3B14006 18007906
	v_exp_f32_e32 v4, v4                                       // 0000000050C4: 7E084104
	v_exp_f32_e32 v5, v5                                       // 0000000050C8: 7E0A4105
	v_exp_f32_e32 v6, v6                                       // 0000000050CC: 7E0C4106
	v_exp_f32_e32 v7, v7                                       // 0000000050D0: 7E0E4107
	v_add_f32_e64 v4, v4, 1.0                                  // 0000000050D4: D1010004 0001E504
	v_add_f32_e64 v5, v5, 1.0                                  // 0000000050DC: D1010005 0001E505
	v_add_f32_e64 v6, v6, 1.0                                  // 0000000050E4: D1010006 0001E506
	v_add_f32_e64 v7, v7, 1.0                                  // 0000000050EC: D1010007 0001E507
	v_rcp_f32_e32 v4, v4                                       // 0000000050F4: 7E084504
	v_rcp_f32_e32 v5, v5                                       // 0000000050F8: 7E0A4505
	v_rcp_f32_e32 v6, v6                                       // 0000000050FC: 7E0C4506
	v_rcp_f32_e32 v7, v7                                       // 000000005100: 7E0E4507
	v_mul_f32_e32 v52, v52, v4                                 // 000000005104: 0A680934
	v_mul_f32_e32 v53, v53, v5                                 // 000000005108: 0A6A0B35
	v_mul_f32_e32 v54, v54, v6                                 // 00000000510C: 0A6C0D36
	v_mul_f32_e32 v55, v55, v7                                 // 000000005110: 0A6E0F37
	v_mul_f32_e32 v52, v52, v68                                // 000000005114: 0A688934
	v_mul_f32_e32 v53, v53, v69                                // 000000005118: 0A6A8B35
	v_mul_f32_e32 v54, v54, v70                                // 00000000511C: 0A6C8D36
	v_mul_f32_e32 v55, v55, v71                                // 000000005120: 0A6E8F37
	s_branch label_0A4D                                        // 000000005124: BF820080

0000000000005128 <label_09CD>:
	v_mul_f32_e64 v4, -v40, s6                                 // 000000005128: D1050004 20000D28
	v_mul_f32_e64 v5, -v41, s6                                 // 000000005130: D1050005 20000D29
	v_mul_f32_e64 v6, -v42, s6                                 // 000000005138: D1050006 20000D2A
	v_mul_f32_e64 v7, -v43, s6                                 // 000000005140: D1050007 20000D2B
	v_exp_f32_e32 v4, v4                                       // 000000005148: 7E084104
	v_exp_f32_e32 v5, v5                                       // 00000000514C: 7E0A4105
	v_exp_f32_e32 v6, v6                                       // 000000005150: 7E0C4106
	v_exp_f32_e32 v7, v7                                       // 000000005154: 7E0E4107
	v_add_f32_e64 v4, v4, 1.0                                  // 000000005158: D1010004 0001E504
	v_add_f32_e64 v5, v5, 1.0                                  // 000000005160: D1010005 0001E505
	v_add_f32_e64 v6, v6, 1.0                                  // 000000005168: D1010006 0001E506
	v_add_f32_e64 v7, v7, 1.0                                  // 000000005170: D1010007 0001E507
	v_rcp_f32_e32 v4, v4                                       // 000000005178: 7E084504
	v_rcp_f32_e32 v5, v5                                       // 00000000517C: 7E0A4505
	v_rcp_f32_e32 v6, v6                                       // 000000005180: 7E0C4506
	v_rcp_f32_e32 v7, v7                                       // 000000005184: 7E0E4507
	v_mul_f32_e32 v40, v40, v4                                 // 000000005188: 0A500928
	v_mul_f32_e32 v41, v41, v5                                 // 00000000518C: 0A520B29
	v_mul_f32_e32 v42, v42, v6                                 // 000000005190: 0A540D2A
	v_mul_f32_e32 v43, v43, v7                                 // 000000005194: 0A560F2B
	v_mul_f32_e32 v40, v40, v56                                // 000000005198: 0A507128
	v_mul_f32_e32 v41, v41, v57                                // 00000000519C: 0A527329
	v_mul_f32_e32 v42, v42, v58                                // 0000000051A0: 0A54752A
	v_mul_f32_e32 v43, v43, v59                                // 0000000051A4: 0A56772B
	v_mul_f32_e64 v4, -v44, s6                                 // 0000000051A8: D1050004 20000D2C
	v_mul_f32_e64 v5, -v45, s6                                 // 0000000051B0: D1050005 20000D2D
	v_mul_f32_e64 v6, -v46, s6                                 // 0000000051B8: D1050006 20000D2E
	v_mul_f32_e64 v7, -v47, s6                                 // 0000000051C0: D1050007 20000D2F
	v_exp_f32_e32 v4, v4                                       // 0000000051C8: 7E084104
	v_exp_f32_e32 v5, v5                                       // 0000000051CC: 7E0A4105
	v_exp_f32_e32 v6, v6                                       // 0000000051D0: 7E0C4106
	v_exp_f32_e32 v7, v7                                       // 0000000051D4: 7E0E4107
	v_add_f32_e64 v4, v4, 1.0                                  // 0000000051D8: D1010004 0001E504
	v_add_f32_e64 v5, v5, 1.0                                  // 0000000051E0: D1010005 0001E505
	v_add_f32_e64 v6, v6, 1.0                                  // 0000000051E8: D1010006 0001E506
	v_add_f32_e64 v7, v7, 1.0                                  // 0000000051F0: D1010007 0001E507
	v_rcp_f32_e32 v4, v4                                       // 0000000051F8: 7E084504
	v_rcp_f32_e32 v5, v5                                       // 0000000051FC: 7E0A4505
	v_rcp_f32_e32 v6, v6                                       // 000000005200: 7E0C4506
	v_rcp_f32_e32 v7, v7                                       // 000000005204: 7E0E4507
	v_mul_f32_e32 v44, v44, v4                                 // 000000005208: 0A58092C
	v_mul_f32_e32 v45, v45, v5                                 // 00000000520C: 0A5A0B2D
	v_mul_f32_e32 v46, v46, v6                                 // 000000005210: 0A5C0D2E
	v_mul_f32_e32 v47, v47, v7                                 // 000000005214: 0A5E0F2F
	v_mul_f32_e32 v44, v44, v60                                // 000000005218: 0A58792C
	v_mul_f32_e32 v45, v45, v61                                // 00000000521C: 0A5A7B2D
	v_mul_f32_e32 v46, v46, v62                                // 000000005220: 0A5C7D2E
	v_mul_f32_e32 v47, v47, v63                                // 000000005224: 0A5E7F2F
	v_mul_f32_e64 v4, -v48, s6                                 // 000000005228: D1050004 20000D30
	v_mul_f32_e64 v5, -v49, s6                                 // 000000005230: D1050005 20000D31
	v_mul_f32_e64 v6, -v50, s6                                 // 000000005238: D1050006 20000D32
	v_mul_f32_e64 v7, -v51, s6                                 // 000000005240: D1050007 20000D33
	v_exp_f32_e32 v4, v4                                       // 000000005248: 7E084104
	v_exp_f32_e32 v5, v5                                       // 00000000524C: 7E0A4105
	v_exp_f32_e32 v6, v6                                       // 000000005250: 7E0C4106
	v_exp_f32_e32 v7, v7                                       // 000000005254: 7E0E4107
	v_add_f32_e64 v4, v4, 1.0                                  // 000000005258: D1010004 0001E504
	v_add_f32_e64 v5, v5, 1.0                                  // 000000005260: D1010005 0001E505
	v_add_f32_e64 v6, v6, 1.0                                  // 000000005268: D1010006 0001E506
	v_add_f32_e64 v7, v7, 1.0                                  // 000000005270: D1010007 0001E507
	v_rcp_f32_e32 v4, v4                                       // 000000005278: 7E084504
	v_rcp_f32_e32 v5, v5                                       // 00000000527C: 7E0A4505
	v_rcp_f32_e32 v6, v6                                       // 000000005280: 7E0C4506
	v_rcp_f32_e32 v7, v7                                       // 000000005284: 7E0E4507
	v_mul_f32_e32 v48, v48, v4                                 // 000000005288: 0A600930
	v_mul_f32_e32 v49, v49, v5                                 // 00000000528C: 0A620B31
	v_mul_f32_e32 v50, v50, v6                                 // 000000005290: 0A640D32
	v_mul_f32_e32 v51, v51, v7                                 // 000000005294: 0A660F33
	v_mul_f32_e32 v48, v48, v64                                // 000000005298: 0A608130
	v_mul_f32_e32 v49, v49, v65                                // 00000000529C: 0A628331
	v_mul_f32_e32 v50, v50, v66                                // 0000000052A0: 0A648532
	v_mul_f32_e32 v51, v51, v67                                // 0000000052A4: 0A668733
	v_mul_f32_e64 v4, -v52, s6                                 // 0000000052A8: D1050004 20000D34
	v_mul_f32_e64 v5, -v53, s6                                 // 0000000052B0: D1050005 20000D35
	v_mul_f32_e64 v6, -v54, s6                                 // 0000000052B8: D1050006 20000D36
	v_mul_f32_e64 v7, -v55, s6                                 // 0000000052C0: D1050007 20000D37
	v_exp_f32_e32 v4, v4                                       // 0000000052C8: 7E084104
	v_exp_f32_e32 v5, v5                                       // 0000000052CC: 7E0A4105
	v_exp_f32_e32 v6, v6                                       // 0000000052D0: 7E0C4106
	v_exp_f32_e32 v7, v7                                       // 0000000052D4: 7E0E4107
	v_add_f32_e64 v4, v4, 1.0                                  // 0000000052D8: D1010004 0001E504
	v_add_f32_e64 v5, v5, 1.0                                  // 0000000052E0: D1010005 0001E505
	v_add_f32_e64 v6, v6, 1.0                                  // 0000000052E8: D1010006 0001E506
	v_add_f32_e64 v7, v7, 1.0                                  // 0000000052F0: D1010007 0001E507
	v_rcp_f32_e32 v4, v4                                       // 0000000052F8: 7E084504
	v_rcp_f32_e32 v5, v5                                       // 0000000052FC: 7E0A4505
	v_rcp_f32_e32 v6, v6                                       // 000000005300: 7E0C4506
	v_rcp_f32_e32 v7, v7                                       // 000000005304: 7E0E4507
	v_mul_f32_e32 v52, v52, v4                                 // 000000005308: 0A680934
	v_mul_f32_e32 v53, v53, v5                                 // 00000000530C: 0A6A0B35
	v_mul_f32_e32 v54, v54, v6                                 // 000000005310: 0A6C0D36
	v_mul_f32_e32 v55, v55, v7                                 // 000000005314: 0A6E0F37
	v_mul_f32_e32 v52, v52, v68                                // 000000005318: 0A688934
	v_mul_f32_e32 v53, v53, v69                                // 00000000531C: 0A6A8B35
	v_mul_f32_e32 v54, v54, v70                                // 000000005320: 0A6C8D36
	v_mul_f32_e32 v55, v55, v71                                // 000000005324: 0A6E8F37

0000000000005328 <label_0A4D>:
	s_cmp_eq_u32 s7, 0                                         // 000000005328: BF068007
	s_cbranch_scc0 label_0A54                                  // 00000000532C: BF840005
	v_and_b32_e32 v4, 15, v0                                   // 000000005330: 2608008F
	v_lshlrev_b32_e32 v4, 2, v4                                // 000000005334: 24080882
	buffer_load_dword v28, v4, s[12:15], 0 offen               // 000000005338: E0501000 80031C04
	v_add_u32_e32 v4, 64, v4                                   // 000000005340: 680808C0

0000000000005344 <label_0A54>:
	v_lshlrev_b32_e32 v4, 2, v0                                // 000000005344: 24080082
	s_mul_i32 s60, 0x100, s7                                   // 000000005348: 923C07FF 00000100
	v_add_u32_e32 v58, s60, v4                                 // 000000005350: 6874083C
	v_and_b32_e32 v4, 15, v0                                   // 000000005354: 2608008F
	v_lshlrev_b32_e32 v59, 2, v4                               // 000000005358: 24760882
	s_waitcnt lgkmcnt(0)                                       // 00000000535C: BF8CC07F
	s_barrier                                                  // 000000005360: BF8A0000
	v_mov_b32_e32 v56, 0x358637bd                              // 000000005364: 7E7002FF 358637BD
	v_max3_f32 v56, |v40|, |v41|, v56                          // 00000000536C: D1D30338 04E25328
	v_max3_f32 v56, |v42|, |v43|, v56                          // 000000005374: D1D30338 04E2572A
	v_max3_f32 v56, |v44|, |v45|, v56                          // 00000000537C: D1D30338 04E25B2C
	v_max3_f32 v56, |v46|, |v47|, v56                          // 000000005384: D1D30338 04E25F2E
	ds_write_b32 v58, v56                                      // 00000000538C: D81A0000 0000383A
	s_waitcnt lgkmcnt(0)                                       // 000000005394: BF8CC07F
	s_barrier                                                  // 000000005398: BF8A0000
	ds_read_b32 v4, v59                                        // 00000000539C: D86C0000 0400003B
	ds_read_b32 v5, v59 offset:64                              // 0000000053A4: D86C0040 0500003B
	ds_read_b32 v6, v59 offset:128                             // 0000000053AC: D86C0080 0600003B
	ds_read_b32 v7, v59 offset:192                             // 0000000053B4: D86C00C0 0700003B
	ds_read_b32 v8, v59 offset:256                             // 0000000053BC: D86C0100 0800003B
	ds_read_b32 v9, v59 offset:320                             // 0000000053C4: D86C0140 0900003B
	ds_read_b32 v10, v59 offset:384                            // 0000000053CC: D86C0180 0A00003B
	ds_read_b32 v11, v59 offset:448                            // 0000000053D4: D86C01C0 0B00003B
	ds_read_b32 v12, v59 offset:512                            // 0000000053DC: D86C0200 0C00003B
	ds_read_b32 v13, v59 offset:576                            // 0000000053E4: D86C0240 0D00003B
	ds_read_b32 v14, v59 offset:640                            // 0000000053EC: D86C0280 0E00003B
	ds_read_b32 v15, v59 offset:704                            // 0000000053F4: D86C02C0 0F00003B
	ds_read_b32 v16, v59 offset:768                            // 0000000053FC: D86C0300 1000003B
	ds_read_b32 v17, v59 offset:832                            // 000000005404: D86C0340 1100003B
	ds_read_b32 v18, v59 offset:896                            // 00000000540C: D86C0380 1200003B
	ds_read_b32 v19, v59 offset:960                            // 000000005414: D86C03C0 1300003B
	s_waitcnt lgkmcnt(0)                                       // 00000000541C: BF8CC07F
	s_barrier                                                  // 000000005420: BF8A0000
	v_max3_f32 v56, |v4|, |v5|, v56                            // 000000005424: D1D30338 04E20B04
	v_max3_f32 v56, |v6|, |v7|, v56                            // 00000000542C: D1D30338 04E20F06
	v_max3_f32 v56, |v8|, |v9|, v56                            // 000000005434: D1D30338 04E21308
	v_max3_f32 v56, |v10|, |v11|, v56                          // 00000000543C: D1D30338 04E2170A
	v_max3_f32 v56, |v12|, |v13|, v56                          // 000000005444: D1D30338 04E21B0C
	v_max3_f32 v56, |v14|, |v15|, v56                          // 00000000544C: D1D30338 04E21F0E
	v_max3_f32 v56, |v16|, |v17|, v56                          // 000000005454: D1D30338 04E22310
	v_max3_f32 v56, |v18|, |v19|, v56                          // 00000000545C: D1D30338 04E22712
	v_rcp_f32_e32 v56, v56                                     // 000000005464: 7E704538
	v_mov_b32_e32 v4, 0x43700000                               // 000000005468: 7E0802FF 43700000
	v_mul_f32_e32 v56, v4, v56                                 // 000000005470: 0A707104
	v_mov_b32_e32 v4, v56                                      // 000000005474: 7E080338
	v_mov_b32_e32 v5, v4                                       // 000000005478: 7E0A0304
	v_pk_mul_f32 v[40:41], v[4:5], v[40:41]                    // 00000000547C: D3B14028 18025104
	v_pk_mul_f32 v[42:43], v[4:5], v[42:43]                    // 000000005484: D3B1402A 18025504
	v_cvt_pk_fp8_f32 v40, v40, v41                             // 00000000548C: D2A20028 00025328
	v_cvt_pk_fp8_f32 v40, v42, v43 op_sel:[0,0,1]              // 000000005494: D2A24028 0002572A
	v_pk_mul_f32 v[44:45], v[4:5], v[44:45]                    // 00000000549C: D3B1402C 18025904
	v_pk_mul_f32 v[46:47], v[4:5], v[46:47]                    // 0000000054A4: D3B1402E 18025D04
	v_cvt_pk_fp8_f32 v44, v44, v45                             // 0000000054AC: D2A2002C 00025B2C
	v_cvt_pk_fp8_f32 v44, v46, v47 op_sel:[0,0,1]              // 0000000054B4: D2A2402C 00025F2E
	v_rcp_f32_e32 v56, v56                                     // 0000000054BC: 7E704538
	v_mov_b32_e32 v57, 0x358637bd                              // 0000000054C0: 7E7202FF 358637BD
	v_max3_f32 v57, |v48|, |v49|, v57                          // 0000000054C8: D1D30339 04E66330
	v_max3_f32 v57, |v50|, |v51|, v57                          // 0000000054D0: D1D30339 04E66732
	v_max3_f32 v57, |v52|, |v53|, v57                          // 0000000054D8: D1D30339 04E66B34
	v_max3_f32 v57, |v54|, |v55|, v57                          // 0000000054E0: D1D30339 04E66F36
	ds_write_b32 v58, v57                                      // 0000000054E8: D81A0000 0000393A
	s_waitcnt lgkmcnt(0)                                       // 0000000054F0: BF8CC07F
	s_barrier                                                  // 0000000054F4: BF8A0000
	ds_read_b32 v4, v59                                        // 0000000054F8: D86C0000 0400003B
	ds_read_b32 v5, v59 offset:64                              // 000000005500: D86C0040 0500003B
	ds_read_b32 v6, v59 offset:128                             // 000000005508: D86C0080 0600003B
	ds_read_b32 v7, v59 offset:192                             // 000000005510: D86C00C0 0700003B
	ds_read_b32 v8, v59 offset:256                             // 000000005518: D86C0100 0800003B
	ds_read_b32 v9, v59 offset:320                             // 000000005520: D86C0140 0900003B
	ds_read_b32 v10, v59 offset:384                            // 000000005528: D86C0180 0A00003B
	ds_read_b32 v11, v59 offset:448                            // 000000005530: D86C01C0 0B00003B
	ds_read_b32 v12, v59 offset:512                            // 000000005538: D86C0200 0C00003B
	ds_read_b32 v13, v59 offset:576                            // 000000005540: D86C0240 0D00003B
	ds_read_b32 v14, v59 offset:640                            // 000000005548: D86C0280 0E00003B
	ds_read_b32 v15, v59 offset:704                            // 000000005550: D86C02C0 0F00003B
	ds_read_b32 v16, v59 offset:768                            // 000000005558: D86C0300 1000003B
	ds_read_b32 v17, v59 offset:832                            // 000000005560: D86C0340 1100003B
	ds_read_b32 v18, v59 offset:896                            // 000000005568: D86C0380 1200003B
	ds_read_b32 v19, v59 offset:960                            // 000000005570: D86C03C0 1300003B
	s_waitcnt lgkmcnt(0)                                       // 000000005578: BF8CC07F
	s_barrier                                                  // 00000000557C: BF8A0000
	v_max3_f32 v57, |v4|, |v5|, v57                            // 000000005580: D1D30339 04E60B04
	v_max3_f32 v57, |v6|, |v7|, v57                            // 000000005588: D1D30339 04E60F06
	v_max3_f32 v57, |v8|, |v9|, v57                            // 000000005590: D1D30339 04E61308
	v_max3_f32 v57, |v10|, |v11|, v57                          // 000000005598: D1D30339 04E6170A
	v_max3_f32 v57, |v12|, |v13|, v57                          // 0000000055A0: D1D30339 04E61B0C
	v_max3_f32 v57, |v14|, |v15|, v57                          // 0000000055A8: D1D30339 04E61F0E
	v_max3_f32 v57, |v16|, |v17|, v57                          // 0000000055B0: D1D30339 04E62310
	v_max3_f32 v57, |v18|, |v19|, v57                          // 0000000055B8: D1D30339 04E62712
	v_rcp_f32_e32 v57, v57                                     // 0000000055C0: 7E724539
	v_mov_b32_e32 v4, 0x43700000                               // 0000000055C4: 7E0802FF 43700000
	v_mul_f32_e32 v57, v4, v57                                 // 0000000055CC: 0A727304
	v_mov_b32_e32 v4, v57                                      // 0000000055D0: 7E080339
	v_mov_b32_e32 v5, v4                                       // 0000000055D4: 7E0A0304
	v_pk_mul_f32 v[48:49], v[4:5], v[48:49]                    // 0000000055D8: D3B14030 18026104
	v_pk_mul_f32 v[50:51], v[4:5], v[50:51]                    // 0000000055E0: D3B14032 18026504
	v_cvt_pk_fp8_f32 v48, v48, v49                             // 0000000055E8: D2A20030 00026330
	v_cvt_pk_fp8_f32 v48, v50, v51 op_sel:[0,0,1]              // 0000000055F0: D2A24030 00026732
	v_pk_mul_f32 v[52:53], v[4:5], v[52:53]                    // 0000000055F8: D3B14034 18026904
	v_pk_mul_f32 v[54:55], v[4:5], v[54:55]                    // 000000005600: D3B14036 18026D04
	v_cvt_pk_fp8_f32 v52, v52, v53                             // 000000005608: D2A20034 00026B34
	v_cvt_pk_fp8_f32 v52, v54, v55 op_sel:[0,0,1]              // 000000005610: D2A24034 00026F36
	v_rcp_f32_e32 v57, v57                                     // 000000005618: 7E724539
	v_lshrrev_b32_e32 v4, 5, v0                                // 00000000561C: 20080085
	v_mul_lo_u32 v20, 34, v4                                   // 000000005620: D2850014 000208A2
	v_and_b32_e32 v4, 31, v0                                   // 000000005628: 2608009F
	v_lshrrev_b32_e32 v5, 4, v4                                // 00000000562C: 200A0884
	v_add_u32_e32 v20, v5, v20                                 // 000000005630: 68282905
	v_and_b32_e32 v4, 15, v0                                   // 000000005634: 2608008F
	v_mul_lo_u32 v5, 2, v4                                     // 000000005638: D2850005 00020882
	v_add_u32_e32 v20, v5, v20                                 // 000000005640: 68282905
	s_mul_i32 s60, s7, 0x44                                    // 000000005644: 923CFF07 00000044
	v_add_u32_e32 v20, s60, v20                                // 00000000564C: 6828283C
	v_lshlrev_b32_e32 v20, 2, v20                              // 000000005650: 24282882
	ds_write_b32 v20, v40                                      // 000000005654: D81A0000 00002814
	ds_write_b32 v20, v44 offset:1088                          // 00000000565C: D81A0440 00002C14
	ds_write_b32 v20, v48 offset:2176                          // 000000005664: D81A0880 00003014
	ds_write_b32 v20, v52 offset:3264                          // 00000000566C: D81A0CC0 00003414
	v_lshrrev_b32_e32 v4, 5, v0                                // 000000005674: 20080085
	v_xor_b32_e32 v5, 1, v4                                    // 000000005678: 2A0A0881
	s_mul_i32 s60, s65, 1                                      // 00000000567C: 923C8141
	s_cmp_eq_u32 s88, 0                                        // 000000005680: BF068058
	s_cselect_b32 s61, 1, 8                                    // 000000005684: 853D8881
	s_mul_i32 s60, s61, s60                                    // 000000005688: 923C3C3D
	v_readlane_b32 s82, v3, 0                                  // 00000000568C: D2890052 00010103
	s_lshr_b32 s61, s82, 24                                    // 000000005694: 8F3D9852
	s_and_b32 s82, s82, 0xffffff                               // 000000005698: 8652FF52 00FFFFFF
	s_mul_i32 s82, s82, s71                                    // 0000000056A0: 92524752
	s_mul_i32 s61, s60, s61                                    // 0000000056A4: 923D3D3C
	s_add_u32 s82, s82, s61                                    // 0000000056A8: 80523D52
	v_mul_lo_u32 v6, v5, s82                                   // 0000000056AC: D2850006 0000A505
	v_readlane_b32 s82, v3, 1                                  // 0000000056B4: D2890052 00010303
	s_lshr_b32 s61, s82, 24                                    // 0000000056BC: 8F3D9852
	s_and_b32 s82, s82, 0xffffff                               // 0000000056C0: 8652FF52 00FFFFFF
	s_mul_i32 s82, s82, s71                                    // 0000000056C8: 92524752
	s_mul_i32 s61, s60, s61                                    // 0000000056CC: 923D3D3C
	s_add_u32 s82, s82, s61                                    // 0000000056D0: 80523D52
	v_mul_lo_u32 v7, v4, s82                                   // 0000000056D4: D2850007 0000A504
	v_add_u32_e32 v32, v6, v7                                  // 0000000056DC: 68400F06
	v_readlane_b32 s82, v3, 2                                  // 0000000056E0: D2890052 00010503
	s_lshr_b32 s61, s82, 24                                    // 0000000056E8: 8F3D9852
	s_and_b32 s82, s82, 0xffffff                               // 0000000056EC: 8652FF52 00FFFFFF
	s_mul_i32 s82, s82, s71                                    // 0000000056F4: 92524752
	s_mul_i32 s61, s60, s61                                    // 0000000056F8: 923D3D3C
	s_add_u32 s82, s82, s61                                    // 0000000056FC: 80523D52
	v_mul_lo_u32 v6, v5, s82                                   // 000000005700: D2850006 0000A505
	v_readlane_b32 s82, v3, 3                                  // 000000005708: D2890052 00010703
	s_lshr_b32 s61, s82, 24                                    // 000000005710: 8F3D9852
	s_and_b32 s82, s82, 0xffffff                               // 000000005714: 8652FF52 00FFFFFF
	s_mul_i32 s82, s82, s71                                    // 00000000571C: 92524752
	s_mul_i32 s61, s60, s61                                    // 000000005720: 923D3D3C
	s_add_u32 s82, s82, s61                                    // 000000005724: 80523D52
	v_mul_lo_u32 v7, v4, s82                                   // 000000005728: D2850007 0000A504
	v_add_u32_e32 v33, v6, v7                                  // 000000005730: 68420F06
	v_and_b32_e32 v4, 31, v0                                   // 000000005734: 2608009F
	v_lshrrev_b32_e32 v4, 1, v4                                // 000000005738: 20080881
	s_cmp_eq_u32 s88, 0                                        // 00000000573C: BF068058
	s_cselect_b32 s61, 2, 4                                    // 000000005740: 853D8482
	v_mul_lo_u32 v4, v4, s61                                   // 000000005744: D2850004 00007B04
	v_and_b32_e64 v5, v0, 1                                    // 00000000574C: D1130005 00010300
	v_add_u32_e32 v4, v4, v5                                   // 000000005754: 68080B04
	v_lshlrev_b32_e32 v4, 2, v4                                // 000000005758: 24080882
	v_add_u32_e32 v32, v32, v4                                 // 00000000575C: 68400920
	v_add_u32_e32 v33, v33, v4                                 // 000000005760: 68420921
	s_waitcnt lgkmcnt(0)                                       // 000000005764: BF8CC07F
	s_barrier                                                  // 000000005768: BF8A0000
	ds_read_b32 v40, v21                                       // 00000000576C: D86C0000 28000015
	ds_read_b32 v41, v21 offset:64                             // 000000005774: D86C0040 29000015
	ds_read_b32 v42, v21 offset:2176                           // 00000000577C: D86C0880 2A000015
	ds_read_b32 v43, v21 offset:2240                           // 000000005784: D86C08C0 2B000015
	s_waitcnt lgkmcnt(0)                                       // 00000000578C: BF8CC07F
	s_mov_b32 s36, -1                                          // 000000005790: BEA400C1
	s_mov_b32 s37, -1                                          // 000000005794: BEA500C1
	v_mov_b32_e32 v7, 0                                        // 000000005798: 7E0E0280
	s_or_b32 s9, s9, 0x40000                                   // 00000000579C: 8709FF09 00040000
	s_mov_b64 exec, s[36:37]                                   // 0000000057A4: BEFE0124
	v_mov_b32_e32 v6, v32                                      // 0000000057A8: 7E0C0320
	s_mov_b64 s[60:61], 0                                      // 0000000057AC: BEBC0180
	v_readlane_b32 s82, v3, 0                                  // 0000000057B0: D2890052 00010103
	s_and_b32 s82, s82, 0xffffff                               // 0000000057B8: 8652FF52 00FFFFFF
	s_cmp_lt_u32 s82, s66                                      // 0000000057C0: BF0A4252
	s_cselect_b32 s20, s36, s60                                // 0000000057C4: 85143C24
	v_readlane_b32 s82, v3, 1                                  // 0000000057C8: D2890052 00010303
	s_and_b32 s82, s82, 0xffffff                               // 0000000057D0: 8652FF52 00FFFFFF
	s_cmp_lt_u32 s82, s66                                      // 0000000057D8: BF0A4252
	s_cselect_b32 s21, s36, s60                                // 0000000057DC: 85153C24
	s_mov_b64 exec, s[20:21]                                   // 0000000057E0: BEFE0114
	buffer_store_dword v40, v6, s[8:11], 0 offen               // 0000000057E4: E0701000 80022806
	buffer_store_dword v42, v6, s[8:11], 0 offen offset:128    // 0000000057EC: E0701080 80022A06
	s_mov_b64 exec, s[36:37]                                   // 0000000057F4: BEFE0124
	v_mov_b32_e32 v6, v33                                      // 0000000057F8: 7E0C0321
	s_mov_b64 s[60:61], 0                                      // 0000000057FC: BEBC0180
	v_readlane_b32 s82, v3, 2                                  // 000000005800: D2890052 00010503
	s_and_b32 s82, s82, 0xffffff                               // 000000005808: 8652FF52 00FFFFFF
	s_cmp_lt_u32 s82, s66                                      // 000000005810: BF0A4252
	s_cselect_b32 s20, s36, s60                                // 000000005814: 85143C24
	v_readlane_b32 s82, v3, 3                                  // 000000005818: D2890052 00010703
	s_and_b32 s82, s82, 0xffffff                               // 000000005820: 8652FF52 00FFFFFF
	s_cmp_lt_u32 s82, s66                                      // 000000005828: BF0A4252
	s_cselect_b32 s21, s36, s60                                // 00000000582C: 85153C24
	s_mov_b64 exec, s[20:21]                                   // 000000005830: BEFE0114
	buffer_store_dword v41, v6, s[8:11], 0 offen               // 000000005834: E0701000 80022906
	buffer_store_dword v43, v6, s[8:11], 0 offen offset:128    // 00000000583C: E0701080 80022B06
	s_mov_b64 exec, s[36:37]                                   // 000000005844: BEFE0124
	s_cmp_eq_u32 s7, 0                                         // 000000005848: BF068007
	s_cbranch_scc0 label_0D29                                  // 00000000584C: BF840192
	s_waitcnt vmcnt(4)                                         // 000000005850: BF8C0F74
	s_mov_b32 s8, s90                                          // 000000005854: BE88005A
	s_mov_b32 s9, s91                                          // 000000005858: BE89005B
	s_mul_i32 s60, s66, s71                                    // 00000000585C: 923C4742
	s_add_u32 s8, s60, s8                                      // 000000005860: 8008083C
	s_addc_u32 s9, 0, s9                                       // 000000005864: 82090980
	s_lshr_b32 s71, s71, 5                                     // 000000005868: 8F478547
	s_mul_i32 s60, s66, s71                                    // 00000000586C: 923C4742
	s_mov_b32 s10, s60                                         // 000000005870: BE8A003C
	s_lshr_b32 s61, s65, 5                                     // 000000005874: 8F3D8541
	s_mul_i32 s60, s2, 8                                       // 000000005878: 923C8802
	v_lshrrev_b32_e32 v4, 24, v28                              // 00000000587C: 20083898
	v_mul_lo_u32 v4, s61, v4                                   // 000000005880: D2850004 0002083D
	v_and_b32_e32 v28, 0xffffff, v28                           // 000000005888: 263838FF 00FFFFFF
	v_mul_lo_u32 v28, s71, v28                                 // 000000005890: D285001C 00023847
	v_add_u32_e32 v28, v4, v28                                 // 000000005898: 68383904
	v_add_u32_e32 v28, s60, v28                                // 00000000589C: 6838383C
	s_mov_b64 exec, 0xffff                                     // 0000000058A0: BEFE01FF 0000FFFF
	buffer_store_dword v56, v28, s[8:11], 0 offen              // 0000000058A8: E0701000 8002381C
	buffer_store_dword v57, v28, s[8:11], 0 offen offset:4     // 0000000058B0: E0701004 8002391C
	s_mov_b64 exec, s[36:37]                                   // 0000000058B8: BEFE0124
	s_branch label_0D29                                        // 0000000058BC: BF820176

00000000000058c0 <label_0BB3>:
	ds_write_b64 v20, v[40:41]                                 // 0000000058C0: D89A0000 00002814
	ds_write_b64 v20, v[44:45] offset:2176                     // 0000000058C8: D89A0880 00002C14
	ds_write_b64 v20, v[48:49] offset:4352                     // 0000000058D0: D89A1100 00003014
	ds_write_b64 v20, v[52:53] offset:6528                     // 0000000058D8: D89A1980 00003414
	v_lshrrev_b32_e32 v4, 5, v0                                // 0000000058E0: 20080085
	v_xor_b32_e32 v5, 1, v4                                    // 0000000058E4: 2A0A0881
	s_mul_i32 s60, s65, 1                                      // 0000000058E8: 923C8141
	s_cmp_eq_u32 s88, 0                                        // 0000000058EC: BF068058
	s_cselect_b32 s61, 1, 8                                    // 0000000058F0: 853D8881
	s_mul_i32 s60, s61, s60                                    // 0000000058F4: 923C3C3D
	v_readlane_b32 s82, v3, 0                                  // 0000000058F8: D2890052 00010103
	s_lshr_b32 s61, s82, 24                                    // 000000005900: 8F3D9852
	s_and_b32 s82, s82, 0xffffff                               // 000000005904: 8652FF52 00FFFFFF
	s_mul_i32 s82, s82, s71                                    // 00000000590C: 92524752
	s_mul_i32 s61, s60, s61                                    // 000000005910: 923D3D3C
	s_add_u32 s82, s82, s61                                    // 000000005914: 80523D52
	v_mul_lo_u32 v6, v5, s82                                   // 000000005918: D2850006 0000A505
	v_readlane_b32 s82, v3, 1                                  // 000000005920: D2890052 00010303
	s_lshr_b32 s61, s82, 24                                    // 000000005928: 8F3D9852
	s_and_b32 s82, s82, 0xffffff                               // 00000000592C: 8652FF52 00FFFFFF
	s_mul_i32 s82, s82, s71                                    // 000000005934: 92524752
	s_mul_i32 s61, s60, s61                                    // 000000005938: 923D3D3C
	s_add_u32 s82, s82, s61                                    // 00000000593C: 80523D52
	v_mul_lo_u32 v7, v4, s82                                   // 000000005940: D2850007 0000A504
	v_add_u32_e32 v32, v6, v7                                  // 000000005948: 68400F06
	v_readlane_b32 s82, v3, 2                                  // 00000000594C: D2890052 00010503
	s_lshr_b32 s61, s82, 24                                    // 000000005954: 8F3D9852
	s_and_b32 s82, s82, 0xffffff                               // 000000005958: 8652FF52 00FFFFFF
	s_mul_i32 s82, s82, s71                                    // 000000005960: 92524752
	s_mul_i32 s61, s60, s61                                    // 000000005964: 923D3D3C
	s_add_u32 s82, s82, s61                                    // 000000005968: 80523D52
	v_mul_lo_u32 v6, v5, s82                                   // 00000000596C: D2850006 0000A505
	v_readlane_b32 s82, v3, 3                                  // 000000005974: D2890052 00010703
	s_lshr_b32 s61, s82, 24                                    // 00000000597C: 8F3D9852
	s_and_b32 s82, s82, 0xffffff                               // 000000005980: 8652FF52 00FFFFFF
	s_mul_i32 s82, s82, s71                                    // 000000005988: 92524752
	s_mul_i32 s61, s60, s61                                    // 00000000598C: 923D3D3C
	s_add_u32 s82, s82, s61                                    // 000000005990: 80523D52
	v_mul_lo_u32 v7, v4, s82                                   // 000000005994: D2850007 0000A504
	v_add_u32_e32 v33, v6, v7                                  // 00000000599C: 68420F06
	v_and_b32_e32 v4, 31, v0                                   // 0000000059A0: 2608009F
	v_lshrrev_b32_e32 v4, 1, v4                                // 0000000059A4: 20080881
	s_cmp_eq_u32 s88, 0                                        // 0000000059A8: BF068058
	s_cselect_b32 s61, 2, 4                                    // 0000000059AC: 853D8482
	v_mul_lo_u32 v4, v4, s61                                   // 0000000059B0: D2850004 00007B04
	v_and_b32_e64 v5, v0, 1                                    // 0000000059B8: D1130005 00010300
	v_add_u32_e32 v4, v4, v5                                   // 0000000059C0: 68080B04
	v_lshlrev_b32_e32 v4, 2, v4                                // 0000000059C4: 24080882
	v_add_u32_e32 v32, v32, v4                                 // 0000000059C8: 68400920
	v_add_u32_e32 v33, v33, v4                                 // 0000000059CC: 68420921
	s_waitcnt lgkmcnt(0)                                       // 0000000059D0: BF8CC07F
	s_barrier                                                  // 0000000059D4: BF8A0000
	ds_read_b32 v40, v21                                       // 0000000059D8: D86C0000 28000015
	ds_read_b32 v41, v21 offset:64                             // 0000000059E0: D86C0040 29000015
	ds_read_b32 v44, v21 offset:2176                           // 0000000059E8: D86C0880 2C000015
	ds_read_b32 v45, v21 offset:2240                           // 0000000059F0: D86C08C0 2D000015
	ds_read_b32 v48, v21 offset:4352                           // 0000000059F8: D86C1100 30000015
	ds_read_b32 v49, v21 offset:4416                           // 000000005A00: D86C1140 31000015
	ds_read_b32 v52, v21 offset:6528                           // 000000005A08: D86C1980 34000015
	ds_read_b32 v53, v21 offset:6592                           // 000000005A10: D86C19C0 35000015
	s_waitcnt lgkmcnt(0)                                       // 000000005A18: BF8CC07F
	s_mov_b32 s36, -1                                          // 000000005A1C: BEA400C1
	s_mov_b32 s37, -1                                          // 000000005A20: BEA500C1
	v_mov_b32_e32 v7, 0                                        // 000000005A24: 7E0E0280
	s_mov_b64 exec, s[36:37]                                   // 000000005A28: BEFE0124
	v_mov_b32_e32 v6, v32                                      // 000000005A2C: 7E0C0320
	s_mov_b64 s[60:61], 0                                      // 000000005A30: BEBC0180
	v_readlane_b32 s82, v3, 0                                  // 000000005A34: D2890052 00010103
	s_and_b32 s82, s82, 0xffffff                               // 000000005A3C: 8652FF52 00FFFFFF
	s_cmp_lt_u32 s82, s66                                      // 000000005A44: BF0A4252
	s_cselect_b32 s20, s36, s60                                // 000000005A48: 85143C24
	v_readlane_b32 s82, v3, 1                                  // 000000005A4C: D2890052 00010303
	s_and_b32 s82, s82, 0xffffff                               // 000000005A54: 8652FF52 00FFFFFF
	s_cmp_lt_u32 s82, s66                                      // 000000005A5C: BF0A4252
	s_cselect_b32 s21, s36, s60                                // 000000005A60: 85153C24
	s_mov_b64 exec, s[20:21]                                   // 000000005A64: BEFE0114
	global_atomic_add_f32 v6, v40, s[8:9]                      // 000000005A68: DD348000 00082806
	global_atomic_add_f32 v6, v44, s[8:9] offset:256           // 000000005A70: DD348100 00082C06
	global_atomic_add_f32 v6, v48, s[8:9] offset:512           // 000000005A78: DD348200 00083006
	global_atomic_add_f32 v6, v52, s[8:9] offset:768           // 000000005A80: DD348300 00083406
	s_mov_b64 exec, s[36:37]                                   // 000000005A88: BEFE0124
	v_mov_b32_e32 v6, v33                                      // 000000005A8C: 7E0C0321
	s_mov_b64 s[60:61], 0                                      // 000000005A90: BEBC0180
	v_readlane_b32 s82, v3, 2                                  // 000000005A94: D2890052 00010503
	s_and_b32 s82, s82, 0xffffff                               // 000000005A9C: 8652FF52 00FFFFFF
	s_cmp_lt_u32 s82, s66                                      // 000000005AA4: BF0A4252
	s_cselect_b32 s20, s36, s60                                // 000000005AA8: 85143C24
	v_readlane_b32 s82, v3, 3                                  // 000000005AAC: D2890052 00010703
	s_and_b32 s82, s82, 0xffffff                               // 000000005AB4: 8652FF52 00FFFFFF
	s_cmp_lt_u32 s82, s66                                      // 000000005ABC: BF0A4252
	s_cselect_b32 s21, s36, s60                                // 000000005AC0: 85153C24
	s_mov_b64 exec, s[20:21]                                   // 000000005AC4: BEFE0114
	global_atomic_add_f32 v6, v41, s[8:9]                      // 000000005AC8: DD348000 00082906
	global_atomic_add_f32 v6, v45, s[8:9] offset:256           // 000000005AD0: DD348100 00082D06
	global_atomic_add_f32 v6, v49, s[8:9] offset:512           // 000000005AD8: DD348200 00083106
	global_atomic_add_f32 v6, v53, s[8:9] offset:768           // 000000005AE0: DD348300 00083506
	s_mov_b64 exec, s[36:37]                                   // 000000005AE8: BEFE0124
	ds_write_b64 v20, v[42:43]                                 // 000000005AEC: D89A0000 00002A14
	ds_write_b64 v20, v[46:47] offset:2176                     // 000000005AF4: D89A0880 00002E14
	ds_write_b64 v20, v[50:51] offset:4352                     // 000000005AFC: D89A1100 00003214
	ds_write_b64 v20, v[54:55] offset:6528                     // 000000005B04: D89A1980 00003614
	s_waitcnt lgkmcnt(0)                                       // 000000005B0C: BF8CC07F
	s_barrier                                                  // 000000005B10: BF8A0000
	ds_read_b32 v42, v21                                       // 000000005B14: D86C0000 2A000015
	ds_read_b32 v43, v21 offset:64                             // 000000005B1C: D86C0040 2B000015
	ds_read_b32 v46, v21 offset:2176                           // 000000005B24: D86C0880 2E000015
	ds_read_b32 v47, v21 offset:2240                           // 000000005B2C: D86C08C0 2F000015
	ds_read_b32 v50, v21 offset:4352                           // 000000005B34: D86C1100 32000015
	ds_read_b32 v51, v21 offset:4416                           // 000000005B3C: D86C1140 33000015
	ds_read_b32 v54, v21 offset:6528                           // 000000005B44: D86C1980 36000015
	ds_read_b32 v55, v21 offset:6592                           // 000000005B4C: D86C19C0 37000015
	s_waitcnt lgkmcnt(0)                                       // 000000005B54: BF8CC07F
	v_mov_b32_e32 v7, 0                                        // 000000005B58: 7E0E0280
	s_mov_b64 exec, s[36:37]                                   // 000000005B5C: BEFE0124
	v_mov_b32_e32 v6, v32                                      // 000000005B60: 7E0C0320
	s_mov_b64 s[60:61], 0                                      // 000000005B64: BEBC0180
	v_readlane_b32 s82, v3, 0                                  // 000000005B68: D2890052 00010103
	s_and_b32 s82, s82, 0xffffff                               // 000000005B70: 8652FF52 00FFFFFF
	s_cmp_lt_u32 s82, s66                                      // 000000005B78: BF0A4252
	s_cselect_b32 s20, s36, s60                                // 000000005B7C: 85143C24
	v_readlane_b32 s82, v3, 1                                  // 000000005B80: D2890052 00010303
	s_and_b32 s82, s82, 0xffffff                               // 000000005B88: 8652FF52 00FFFFFF
	s_cmp_lt_u32 s82, s66                                      // 000000005B90: BF0A4252
	s_cselect_b32 s21, s36, s60                                // 000000005B94: 85153C24
	s_mov_b64 exec, s[20:21]                                   // 000000005B98: BEFE0114
	global_atomic_add_f32 v6, v42, s[8:9] offset:8             // 000000005B9C: DD348008 00082A06
	global_atomic_add_f32 v6, v46, s[8:9] offset:264           // 000000005BA4: DD348108 00082E06
	global_atomic_add_f32 v6, v50, s[8:9] offset:520           // 000000005BAC: DD348208 00083206
	global_atomic_add_f32 v6, v54, s[8:9] offset:776           // 000000005BB4: DD348308 00083606
	s_mov_b64 exec, s[36:37]                                   // 000000005BBC: BEFE0124
	v_mov_b32_e32 v6, v33                                      // 000000005BC0: 7E0C0321
	s_mov_b64 s[60:61], 0                                      // 000000005BC4: BEBC0180
	v_readlane_b32 s82, v3, 2                                  // 000000005BC8: D2890052 00010503
	s_and_b32 s82, s82, 0xffffff                               // 000000005BD0: 8652FF52 00FFFFFF
	s_cmp_lt_u32 s82, s66                                      // 000000005BD8: BF0A4252
	s_cselect_b32 s20, s36, s60                                // 000000005BDC: 85143C24
	v_readlane_b32 s82, v3, 3                                  // 000000005BE0: D2890052 00010703
	s_and_b32 s82, s82, 0xffffff                               // 000000005BE8: 8652FF52 00FFFFFF
	s_cmp_lt_u32 s82, s66                                      // 000000005BF0: BF0A4252
	s_cselect_b32 s21, s36, s60                                // 000000005BF4: 85153C24
	s_mov_b64 exec, s[20:21]                                   // 000000005BF8: BEFE0114
	global_atomic_add_f32 v6, v43, s[8:9] offset:8             // 000000005BFC: DD348008 00082B06
	global_atomic_add_f32 v6, v47, s[8:9] offset:264           // 000000005C04: DD348108 00082F06
	global_atomic_add_f32 v6, v51, s[8:9] offset:520           // 000000005C0C: DD348208 00083306
	global_atomic_add_f32 v6, v55, s[8:9] offset:776           // 000000005C14: DD348308 00083706
	s_mov_b64 exec, s[36:37]                                   // 000000005C1C: BEFE0124
	ds_write_b64 v20, v[56:57]                                 // 000000005C20: D89A0000 00003814
	ds_write_b64 v20, v[60:61] offset:2176                     // 000000005C28: D89A0880 00003C14
	ds_write_b64 v20, v[64:65] offset:4352                     // 000000005C30: D89A1100 00004014
	ds_write_b64 v20, v[68:69] offset:6528                     // 000000005C38: D89A1980 00004414
	s_waitcnt lgkmcnt(0)                                       // 000000005C40: BF8CC07F
	s_barrier                                                  // 000000005C44: BF8A0000
	ds_read_b32 v56, v21                                       // 000000005C48: D86C0000 38000015
	ds_read_b32 v57, v21 offset:64                             // 000000005C50: D86C0040 39000015
	ds_read_b32 v60, v21 offset:2176                           // 000000005C58: D86C0880 3C000015
	ds_read_b32 v61, v21 offset:2240                           // 000000005C60: D86C08C0 3D000015
	ds_read_b32 v64, v21 offset:4352                           // 000000005C68: D86C1100 40000015
	ds_read_b32 v65, v21 offset:4416                           // 000000005C70: D86C1140 41000015
	ds_read_b32 v68, v21 offset:6528                           // 000000005C78: D86C1980 44000015
	ds_read_b32 v69, v21 offset:6592                           // 000000005C80: D86C19C0 45000015
	s_mul_i32 s60, s65, 4                                      // 000000005C88: 923C8441
	s_add_u32 s8, s60, s8                                      // 000000005C8C: 8008083C
	s_addc_u32 s9, 0, s9                                       // 000000005C90: 82090980
	s_waitcnt lgkmcnt(0)                                       // 000000005C94: BF8CC07F
	v_mov_b32_e32 v7, 0                                        // 000000005C98: 7E0E0280
	s_mov_b64 exec, s[36:37]                                   // 000000005C9C: BEFE0124
	v_mov_b32_e32 v6, v32                                      // 000000005CA0: 7E0C0320
	s_mov_b64 s[60:61], 0                                      // 000000005CA4: BEBC0180
	v_readlane_b32 s82, v3, 0                                  // 000000005CA8: D2890052 00010103
	s_and_b32 s82, s82, 0xffffff                               // 000000005CB0: 8652FF52 00FFFFFF
	s_cmp_lt_u32 s82, s66                                      // 000000005CB8: BF0A4252
	s_cselect_b32 s20, s36, s60                                // 000000005CBC: 85143C24
	v_readlane_b32 s82, v3, 1                                  // 000000005CC0: D2890052 00010303
	s_and_b32 s82, s82, 0xffffff                               // 000000005CC8: 8652FF52 00FFFFFF
	s_cmp_lt_u32 s82, s66                                      // 000000005CD0: BF0A4252
	s_cselect_b32 s21, s36, s60                                // 000000005CD4: 85153C24
	s_mov_b64 exec, s[20:21]                                   // 000000005CD8: BEFE0114
	global_atomic_add_f32 v6, v56, s[8:9]                      // 000000005CDC: DD348000 00083806
	global_atomic_add_f32 v6, v60, s[8:9] offset:256           // 000000005CE4: DD348100 00083C06
	global_atomic_add_f32 v6, v64, s[8:9] offset:512           // 000000005CEC: DD348200 00084006
	global_atomic_add_f32 v6, v68, s[8:9] offset:768           // 000000005CF4: DD348300 00084406
	s_mov_b64 exec, s[36:37]                                   // 000000005CFC: BEFE0124
	v_mov_b32_e32 v6, v33                                      // 000000005D00: 7E0C0321
	s_mov_b64 s[60:61], 0                                      // 000000005D04: BEBC0180
	v_readlane_b32 s82, v3, 2                                  // 000000005D08: D2890052 00010503
	s_and_b32 s82, s82, 0xffffff                               // 000000005D10: 8652FF52 00FFFFFF
	s_cmp_lt_u32 s82, s66                                      // 000000005D18: BF0A4252
	s_cselect_b32 s20, s36, s60                                // 000000005D1C: 85143C24
	v_readlane_b32 s82, v3, 3                                  // 000000005D20: D2890052 00010703
	s_and_b32 s82, s82, 0xffffff                               // 000000005D28: 8652FF52 00FFFFFF
	s_cmp_lt_u32 s82, s66                                      // 000000005D30: BF0A4252
	s_cselect_b32 s21, s36, s60                                // 000000005D34: 85153C24
	s_mov_b64 exec, s[20:21]                                   // 000000005D38: BEFE0114
	global_atomic_add_f32 v6, v57, s[8:9]                      // 000000005D3C: DD348000 00083906
	global_atomic_add_f32 v6, v61, s[8:9] offset:256           // 000000005D44: DD348100 00083D06
	global_atomic_add_f32 v6, v65, s[8:9] offset:512           // 000000005D4C: DD348200 00084106
	global_atomic_add_f32 v6, v69, s[8:9] offset:768           // 000000005D54: DD348300 00084506
	s_mov_b64 exec, s[36:37]                                   // 000000005D5C: BEFE0124
	ds_write_b64 v20, v[58:59]                                 // 000000005D60: D89A0000 00003A14
	ds_write_b64 v20, v[62:63] offset:2176                     // 000000005D68: D89A0880 00003E14
	ds_write_b64 v20, v[66:67] offset:4352                     // 000000005D70: D89A1100 00004214
	ds_write_b64 v20, v[70:71] offset:6528                     // 000000005D78: D89A1980 00004614
	s_waitcnt lgkmcnt(0)                                       // 000000005D80: BF8CC07F
	s_barrier                                                  // 000000005D84: BF8A0000
	ds_read_b32 v58, v21                                       // 000000005D88: D86C0000 3A000015
	ds_read_b32 v59, v21 offset:64                             // 000000005D90: D86C0040 3B000015
	ds_read_b32 v62, v21 offset:2176                           // 000000005D98: D86C0880 3E000015
	ds_read_b32 v63, v21 offset:2240                           // 000000005DA0: D86C08C0 3F000015
	ds_read_b32 v66, v21 offset:4352                           // 000000005DA8: D86C1100 42000015
	ds_read_b32 v67, v21 offset:4416                           // 000000005DB0: D86C1140 43000015
	ds_read_b32 v70, v21 offset:6528                           // 000000005DB8: D86C1980 46000015
	ds_read_b32 v71, v21 offset:6592                           // 000000005DC0: D86C19C0 47000015
	s_waitcnt lgkmcnt(0)                                       // 000000005DC8: BF8CC07F
	v_mov_b32_e32 v7, 0                                        // 000000005DCC: 7E0E0280
	s_mov_b64 exec, s[36:37]                                   // 000000005DD0: BEFE0124
	v_mov_b32_e32 v6, v32                                      // 000000005DD4: 7E0C0320
	s_mov_b64 s[60:61], 0                                      // 000000005DD8: BEBC0180
	v_readlane_b32 s82, v3, 0                                  // 000000005DDC: D2890052 00010103
	s_and_b32 s82, s82, 0xffffff                               // 000000005DE4: 8652FF52 00FFFFFF
	s_cmp_lt_u32 s82, s66                                      // 000000005DEC: BF0A4252
	s_cselect_b32 s20, s36, s60                                // 000000005DF0: 85143C24
	v_readlane_b32 s82, v3, 1                                  // 000000005DF4: D2890052 00010303
	s_and_b32 s82, s82, 0xffffff                               // 000000005DFC: 8652FF52 00FFFFFF
	s_cmp_lt_u32 s82, s66                                      // 000000005E04: BF0A4252
	s_cselect_b32 s21, s36, s60                                // 000000005E08: 85153C24
	s_mov_b64 exec, s[20:21]                                   // 000000005E0C: BEFE0114
	global_atomic_add_f32 v6, v58, s[8:9] offset:8             // 000000005E10: DD348008 00083A06
	global_atomic_add_f32 v6, v62, s[8:9] offset:264           // 000000005E18: DD348108 00083E06
	global_atomic_add_f32 v6, v66, s[8:9] offset:520           // 000000005E20: DD348208 00084206
	global_atomic_add_f32 v6, v70, s[8:9] offset:776           // 000000005E28: DD348308 00084606
	s_mov_b64 exec, s[36:37]                                   // 000000005E30: BEFE0124
	v_mov_b32_e32 v6, v33                                      // 000000005E34: 7E0C0321
	s_mov_b64 s[60:61], 0                                      // 000000005E38: BEBC0180
	v_readlane_b32 s82, v3, 2                                  // 000000005E3C: D2890052 00010503
	s_and_b32 s82, s82, 0xffffff                               // 000000005E44: 8652FF52 00FFFFFF
	s_cmp_lt_u32 s82, s66                                      // 000000005E4C: BF0A4252
	s_cselect_b32 s20, s36, s60                                // 000000005E50: 85143C24
	v_readlane_b32 s82, v3, 3                                  // 000000005E54: D2890052 00010703
	s_and_b32 s82, s82, 0xffffff                               // 000000005E5C: 8652FF52 00FFFFFF
	s_cmp_lt_u32 s82, s66                                      // 000000005E64: BF0A4252
	s_cselect_b32 s21, s36, s60                                // 000000005E68: 85153C24
	s_mov_b64 exec, s[20:21]                                   // 000000005E6C: BEFE0114
	global_atomic_add_f32 v6, v59, s[8:9] offset:8             // 000000005E70: DD348008 00083B06
	global_atomic_add_f32 v6, v63, s[8:9] offset:264           // 000000005E78: DD348108 00083F06
	global_atomic_add_f32 v6, v67, s[8:9] offset:520           // 000000005E80: DD348208 00084306
	global_atomic_add_f32 v6, v71, s[8:9] offset:776           // 000000005E88: DD348308 00084706
	s_mov_b64 exec, s[36:37]                                   // 000000005E90: BEFE0124
	s_branch label_0D29                                        // 000000005E94: BF820000

0000000000005e98 <label_0D29>:
	s_waitcnt vmcnt(0) expcnt(0) lgkmcnt(0)                    // 000000005E98: BF8C0000
	s_endpgm                                                   // 000000005E9C: BF810000
